;; amdgpu-corpus repo=ggml-org/llama.cpp kind=compiled arch=gfx1030 opt=O3
	.amdgcn_target "amdgcn-amd-amdhsa--gfx1030"
	.amdhsa_code_object_version 6
	.section	.text._ZL18flash_attn_ext_vecILi64ELi1EL9ggml_type2ELS0_2ELb0EEvPKcS2_S2_S2_S2_PKiPfP15HIP_vector_typeIfLj2EEffffjfiS6_IjLj3EEiiiiiiiiiiiliiliiiiil,"axG",@progbits,_ZL18flash_attn_ext_vecILi64ELi1EL9ggml_type2ELS0_2ELb0EEvPKcS2_S2_S2_S2_PKiPfP15HIP_vector_typeIfLj2EEffffjfiS6_IjLj3EEiiiiiiiiiiiliiliiiiil,comdat
	.globl	_ZL18flash_attn_ext_vecILi64ELi1EL9ggml_type2ELS0_2ELb0EEvPKcS2_S2_S2_S2_PKiPfP15HIP_vector_typeIfLj2EEffffjfiS6_IjLj3EEiiiiiiiiiiiliiliiiiil ; -- Begin function _ZL18flash_attn_ext_vecILi64ELi1EL9ggml_type2ELS0_2ELb0EEvPKcS2_S2_S2_S2_PKiPfP15HIP_vector_typeIfLj2EEffffjfiS6_IjLj3EEiiiiiiiiiiiliiliiiiil
	.p2align	8
	.type	_ZL18flash_attn_ext_vecILi64ELi1EL9ggml_type2ELS0_2ELb0EEvPKcS2_S2_S2_S2_PKiPfP15HIP_vector_typeIfLj2EEffffjfiS6_IjLj3EEiiiiiiiiiiiliiliiiiil,@function
_ZL18flash_attn_ext_vecILi64ELi1EL9ggml_type2ELS0_2ELb0EEvPKcS2_S2_S2_S2_PKiPfP15HIP_vector_typeIfLj2EEffffjfiS6_IjLj3EEiiiiiiiiiiiliiliiiiil: ; @_ZL18flash_attn_ext_vecILi64ELi1EL9ggml_type2ELS0_2ELb0EEvPKcS2_S2_S2_S2_PKiPfP15HIP_vector_typeIfLj2EEffffjfiS6_IjLj3EEiiiiiiiiiiiliiliiiiil
; %bb.0:
	s_clause 0x3
	s_load_dwordx2 s[28:29], s[4:5], 0x64
	s_load_dwordx2 s[34:35], s[4:5], 0x80
	;; [unrolled: 1-line block ×3, first 2 shown]
	s_load_dwordx4 s[24:27], s[4:5], 0x40
	v_mov_b32_e32 v16, 1.0
	s_waitcnt lgkmcnt(0)
	v_cvt_f32_u32_e32 v2, s29
	s_sub_i32 s1, 0, s29
	v_rcp_iflag_f32_e32 v2, v2
	v_mul_f32_e32 v2, 0x4f7ffffe, v2
	v_cvt_u32_f32_e32 v2, v2
	v_readfirstlane_b32 s0, v2
	s_mul_i32 s1, s1, s0
	s_mul_hi_u32 s1, s0, s1
	s_add_i32 s0, s0, s1
	s_mul_hi_u32 s0, s8, s0
	s_mul_i32 s1, s0, s29
	s_add_i32 s2, s0, 1
	s_sub_i32 s1, s8, s1
	s_sub_i32 s3, s1, s29
	s_cmp_ge_u32 s1, s29
	s_cselect_b32 s0, s2, s0
	s_cselect_b32 s1, s3, s1
	s_add_i32 s2, s0, 1
	s_cmp_ge_u32 s1, s29
	s_cselect_b32 s33, s2, s0
	s_abs_i32 s0, s35
	s_abs_i32 s9, s29
	v_cvt_f32_u32_e32 v2, s0
	s_sub_i32 s2, 0, s0
	s_xor_b32 s3, s29, s35
	s_ashr_i32 s3, s3, 31
	v_rcp_iflag_f32_e32 v2, v2
	v_mul_f32_e32 v2, 0x4f7ffffe, v2
	v_cvt_u32_f32_e32 v2, v2
	v_readfirstlane_b32 s1, v2
	s_mul_i32 s2, s2, s1
	s_mul_hi_u32 s2, s1, s2
	s_add_i32 s1, s1, s2
	s_mul_i32 s2, s33, s29
	s_mul_hi_u32 s1, s9, s1
	s_sub_i32 s30, s8, s2
	s_mul_i32 s10, s1, s0
	s_add_i32 s8, s1, 1
	s_sub_i32 s2, s9, s10
	s_sub_i32 s9, s2, s0
	s_cmp_ge_u32 s2, s0
	s_cselect_b32 s1, s8, s1
	s_cselect_b32 s2, s9, s2
	s_add_i32 s8, s1, 1
	s_cmp_ge_u32 s2, s0
	s_cselect_b32 s0, s8, s1
	s_abs_i32 s35, s36
	s_xor_b32 s0, s0, s3
	v_cvt_f32_u32_e32 v2, s35
	s_sub_i32 s40, s0, s3
	s_load_dword s0, s[4:5], 0x50
	s_abs_i32 s38, s40
	v_cmp_le_f32_e64 s1, s25, 0
	v_cvt_f32_u32_e32 v3, s38
	v_rcp_iflag_f32_e32 v2, v2
	s_sub_i32 s2, 0, s38
	s_abs_i32 s36, s30
	s_and_b32 vcc_lo, exec_lo, s1
	v_rcp_iflag_f32_e32 v3, v3
	s_sub_i32 s1, 0, s35
	s_abs_i32 s39, s33
	v_mul_f32_e32 v2, 0x4f7ffffe, v2
	v_mul_f32_e32 v3, 0x4f7ffffe, v3
	v_cvt_u32_f32_e32 v2, v2
	v_cvt_u32_f32_e32 v3, v3
	v_readfirstlane_b32 s3, v2
	v_readfirstlane_b32 s25, v3
	s_mul_i32 s1, s1, s3
	s_mul_hi_u32 s1, s3, s1
	s_mul_i32 s2, s2, s25
	s_add_i32 s3, s3, s1
	s_mul_hi_u32 s2, s25, s2
	s_add_i32 s25, s25, s2
	s_cbranch_vccnz .LBB0_2
; %bb.1:
	s_waitcnt lgkmcnt(0)
	v_sub_co_u32 v3, vcc_lo, s30, s0
	v_mov_b32_e32 v2, s26
	s_add_i32 s0, s30, 1
	v_lshlrev_b32_e32 v3, 1, v3
	v_cndmask_b32_e32 v2, s27, v2, vcc_lo
	v_or_b32_e32 v3, 1, v3
	v_cndmask_b32_e64 v3, v3, s0, vcc_lo
	v_cmp_neq_f32_e32 vcc_lo, 1.0, v2
	s_mov_b32 s0, 0x3e76c4e1
	v_cvt_f32_i32_e32 v3, v3
	v_cndmask_b32_e32 v4, 1.0, v3, vcc_lo
	v_cmp_neq_f32_e32 vcc_lo, 0, v4
	v_cndmask_b32_e32 v5, 1.0, v2, vcc_lo
	v_frexp_mant_f32_e64 v2, |v5|
	v_cmp_eq_f32_e64 s2, 0, v5
	v_cmp_gt_f32_e32 vcc_lo, 0x3f2aaaab, v2
	v_cndmask_b32_e64 v3, 1.0, 2.0, vcc_lo
	v_mul_f32_e32 v2, v2, v3
	v_add_f32_e32 v3, 1.0, v2
	v_add_f32_e32 v7, -1.0, v2
	v_rcp_f32_e32 v6, v3
	v_add_f32_e32 v9, -1.0, v3
	v_sub_f32_e32 v2, v2, v9
	v_mul_f32_e32 v8, v7, v6
	v_mul_f32_e32 v10, v3, v8
	v_fma_f32 v3, v8, v3, -v10
	v_fmac_f32_e32 v3, v8, v2
	v_add_f32_e32 v2, v10, v3
	v_sub_f32_e32 v9, v7, v2
	v_sub_f32_e32 v10, v2, v10
	;; [unrolled: 1-line block ×5, first 2 shown]
	v_add_f32_e32 v2, v3, v2
	v_add_f32_e32 v2, v9, v2
	v_mul_f32_e32 v2, v6, v2
	v_add_f32_e32 v6, v8, v2
	v_sub_f32_e32 v3, v6, v8
	v_mul_f32_e32 v7, v6, v6
	v_sub_f32_e32 v8, v2, v3
	v_fma_f32 v2, v6, v6, -v7
	v_add_f32_e32 v3, v8, v8
	v_fmac_f32_e32 v2, v6, v3
	v_add_f32_e32 v9, v7, v2
	v_fmaak_f32 v3, s0, v9, 0x3e91f4c4
	v_sub_f32_e32 v7, v9, v7
	v_mul_f32_e32 v14, v6, v9
	v_fmaak_f32 v3, v9, v3, 0x3ecccdef
	v_sub_f32_e32 v7, v2, v7
	v_fma_f32 v15, v9, v6, -v14
	v_mul_f32_e32 v10, v9, v3
	v_fmac_f32_e32 v15, v9, v8
	v_ldexp_f32 v8, v8, 1
	v_fma_f32 v11, v9, v3, -v10
	v_fmac_f32_e32 v15, v7, v6
	v_fmac_f32_e32 v11, v7, v3
	v_cvt_f64_f32_e64 v[2:3], |v5|
	v_add_f32_e32 v12, v10, v11
	v_sub_f32_e32 v10, v12, v10
	v_add_f32_e32 v13, 0x3f2aaaaa, v12
	v_sub_f32_e32 v10, v11, v10
	v_add_f32_e32 v11, 0xbf2aaaaa, v13
	v_add_f32_e32 v10, 0x31739010, v10
	v_sub_f32_e32 v11, v12, v11
	v_frexp_exp_i32_f64_e32 v2, v[2:3]
	v_add_f32_e32 v9, v10, v11
	v_add_f32_e32 v10, v14, v15
	;; [unrolled: 1-line block ×3, first 2 shown]
	v_sub_f32_e32 v12, v10, v14
	v_sub_f32_e32 v3, v13, v7
	v_mul_f32_e32 v11, v10, v7
	v_sub_f32_e32 v12, v15, v12
	v_add_f32_e32 v3, v9, v3
	v_fma_f32 v9, v10, v7, -v11
	v_subrev_co_ci_u32_e64 v2, null, 0, v2, vcc_lo
	v_fmac_f32_e32 v9, v10, v3
	v_ldexp_f32 v3, v6, 1
	v_cvt_f32_i32_e32 v2, v2
	v_fmac_f32_e32 v9, v12, v7
	v_add_f32_e32 v6, v11, v9
	v_add_f32_e32 v7, v3, v6
	v_sub_f32_e32 v10, v6, v11
	v_mul_f32_e32 v11, 0x3f317218, v2
	v_sub_f32_e32 v3, v7, v3
	v_sub_f32_e32 v9, v9, v10
	v_fma_f32 v10, 0x3f317218, v2, -v11
	v_sub_f32_e32 v3, v6, v3
	v_add_f32_e32 v6, v8, v9
	v_fmamk_f32 v2, v2, 0xb102e308, v10
	v_add_f32_e32 v3, v6, v3
	v_add_f32_e32 v6, v11, v2
	;; [unrolled: 1-line block ×3, first 2 shown]
	v_sub_f32_e32 v11, v6, v11
	v_add_f32_e32 v9, v6, v8
	v_sub_f32_e32 v7, v8, v7
	v_sub_f32_e32 v2, v2, v11
	;; [unrolled: 1-line block ×6, first 2 shown]
	v_add_f32_e32 v8, v2, v3
	v_sub_f32_e32 v6, v6, v12
	v_add_f32_e32 v6, v7, v6
	v_sub_f32_e32 v7, v8, v2
	;; [unrolled: 2-line block ×3, first 2 shown]
	v_sub_f32_e32 v3, v3, v7
	v_add_f32_e32 v10, v9, v6
	v_sub_f32_e32 v2, v2, v8
	v_sub_f32_e32 v7, v10, v9
	v_add_f32_e32 v2, v3, v2
	v_sub_f32_e32 v3, v6, v7
	v_add_f32_e32 v2, v2, v3
	v_add_f32_e32 v3, v10, v2
	v_sub_f32_e32 v6, v3, v10
	v_mul_f32_e32 v7, v4, v3
	v_sub_f32_e32 v2, v2, v6
	v_fma_f32 v3, v4, v3, -v7
	v_cmp_class_f32_e64 vcc_lo, v7, 0x204
	v_fmac_f32_e32 v3, v4, v2
	v_add_f32_e32 v2, v7, v3
	v_cndmask_b32_e32 v6, v2, v7, vcc_lo
	v_sub_f32_e32 v2, v2, v7
	v_cmp_eq_f32_e32 vcc_lo, 0x42b17218, v6
	v_sub_f32_e32 v2, v3, v2
	v_cndmask_b32_e64 v8, 0, 0x37000000, vcc_lo
	v_cmp_neq_f32_e64 vcc_lo, 0x7f800000, |v6|
	v_sub_f32_e32 v9, v6, v8
	v_cndmask_b32_e32 v2, 0, v2, vcc_lo
	v_trunc_f32_e32 v6, v4
	v_mul_f32_e32 v10, 0x3fb8aa3b, v9
	v_cmp_ngt_f32_e32 vcc_lo, 0xc2ce8ed0, v9
	v_add_f32_e32 v2, v8, v2
	v_fma_f32 v11, 0x3fb8aa3b, v9, -v10
	v_rndne_f32_e32 v12, v10
	v_fmamk_f32 v11, v9, 0x32a5705f, v11
	v_sub_f32_e32 v10, v10, v12
	v_cvt_i32_f32_e32 v7, v12
	v_add_f32_e32 v10, v10, v11
	v_exp_f32_e32 v10, v10
	v_ldexp_f32 v3, v10, v7
	v_mul_f32_e32 v7, 0.5, v4
	v_cndmask_b32_e32 v3, 0, v3, vcc_lo
	v_cmp_nlt_f32_e32 vcc_lo, 0x42b17218, v9
	v_trunc_f32_e32 v10, v7
	v_cndmask_b32_e32 v3, 0x7f800000, v3, vcc_lo
	v_cmp_eq_f32_e32 vcc_lo, v6, v4
	v_cmp_neq_f32_e64 s0, v10, v7
	v_fma_f32 v2, v3, v2, v3
	v_cmp_class_f32_e64 s1, v3, 0x204
	s_and_b32 s0, vcc_lo, s0
	v_cndmask_b32_e64 v6, 1.0, v5, s0
	v_cndmask_b32_e64 v2, v2, v3, s1
	v_cmp_gt_f32_e64 s1, 0, v4
	v_bfi_b32 v2, 0x7fffffff, v2, v6
	s_xor_b32 s1, s1, s2
	v_cndmask_b32_e64 v6, 0, v5, s0
	v_cndmask_b32_e64 v3, 0x7f800000, 0, s1
	v_cmp_class_f32_e64 s0, v5, 0x204
	v_cndmask_b32_e32 v4, 0x7fc00000, v2, vcc_lo
	v_cmp_gt_f32_e32 vcc_lo, 0, v5
	v_bfi_b32 v3, 0x7fffffff, v3, v6
	v_cndmask_b32_e32 v2, v2, v4, vcc_lo
	s_or_b32 vcc_lo, s2, s0
	v_cndmask_b32_e32 v2, v2, v3, vcc_lo
	v_cmp_o_f32_e32 vcc_lo, v5, v5
	v_cndmask_b32_e32 v16, 0x7fc00000, v2, vcc_lo
.LBB0_2:
	s_load_dwordx16 s[8:23], s[4:5], 0x0
	s_waitcnt lgkmcnt(0)
	v_cmp_eq_u32_e64 s0, 0, v1
	s_mul_hi_u32 s41, s36, s25
	s_mul_hi_u32 s42, s39, s3
	s_and_saveexec_b32 s25, s0
	s_cbranch_execz .LBB0_15
; %bb.3:
	s_load_dwordx4 s[44:47], s[4:5], 0x70
	v_lshlrev_b32_e32 v2, 4, v0
	v_cmp_gt_u32_e32 vcc_lo, 16, v0
	v_mov_b32_e32 v4, 0
	v_mov_b32_e32 v5, 0
	s_waitcnt lgkmcnt(0)
	s_mul_i32 s1, s33, s46
	s_mul_i32 s2, s44, s6
	;; [unrolled: 1-line block ×3, first 2 shown]
	s_add_i32 s1, s1, s2
	s_add_i32 s1, s1, s3
	s_ashr_i32 s2, s1, 31
	s_add_u32 s1, s8, s1
	s_addc_u32 s2, s9, s2
	v_add_co_u32 v2, s1, s1, v2
	v_add_co_ci_u32_e64 v3, null, s2, 0, s1
	s_and_saveexec_b32 s1, vcc_lo
	s_cbranch_execz .LBB0_5
; %bb.4:
	global_load_dword v5, v[2:3], off
	s_waitcnt vmcnt(0)
	v_mul_f32_e32 v5, s24, v5
.LBB0_5:
	s_or_b32 exec_lo, exec_lo, s1
	s_and_saveexec_b32 s1, vcc_lo
	s_cbranch_execz .LBB0_7
; %bb.6:
	global_load_dword v4, v[2:3], off offset:4
	s_waitcnt vmcnt(0)
	v_mul_f32_e32 v4, s24, v4
.LBB0_7:
	s_or_b32 exec_lo, exec_lo, s1
	v_mov_b32_e32 v6, 0
	v_mov_b32_e32 v7, 0
	s_and_saveexec_b32 s1, vcc_lo
	s_cbranch_execz .LBB0_9
; %bb.8:
	global_load_dword v7, v[2:3], off offset:8
	s_waitcnt vmcnt(0)
	v_mul_f32_e32 v7, s24, v7
.LBB0_9:
	s_or_b32 exec_lo, exec_lo, s1
	s_and_saveexec_b32 s1, vcc_lo
	s_cbranch_execz .LBB0_11
; %bb.10:
	global_load_dword v2, v[2:3], off offset:12
	s_waitcnt vmcnt(0)
	v_mul_f32_e32 v6, s24, v2
.LBB0_11:
	s_or_b32 exec_lo, exec_lo, s1
	v_mbcnt_lo_u32_b32 v2, -1, 0
	v_max_f32_e64 v3, |v4|, |v4|
	v_max_f32_e64 v8, |v5|, |v5|
	s_mov_b32 s8, exec_lo
	v_xor_b32_e32 v9, 4, v2
	v_xor_b32_e32 v10, 2, v2
	v_max_f32_e32 v3, v8, v3
	v_xor_b32_e32 v11, 1, v2
	v_cmp_gt_i32_e32 vcc_lo, 32, v9
	v_max3_f32 v3, v3, |v7|, |v6|
	v_cndmask_b32_e32 v8, v2, v9, vcc_lo
	v_cmp_gt_i32_e32 vcc_lo, 32, v10
	v_lshlrev_b32_e32 v8, 2, v8
	v_cndmask_b32_e32 v10, v2, v10, vcc_lo
	v_cmp_gt_i32_e32 vcc_lo, 32, v11
	ds_bpermute_b32 v9, v8, v3
	v_lshlrev_b32_e32 v10, 2, v10
	v_cndmask_b32_e32 v2, v2, v11, vcc_lo
	v_add_f32_e32 v11, v5, v4
	v_lshlrev_b32_e32 v2, 2, v2
	v_add_f32_e32 v11, v11, v7
	v_add_f32_e32 v11, v11, v6
	ds_bpermute_b32 v8, v8, v11
	s_waitcnt lgkmcnt(1)
	v_max_f32_e32 v9, v9, v9
	v_max_f32_e32 v3, v3, v9
	ds_bpermute_b32 v9, v10, v3
	s_waitcnt lgkmcnt(0)
	v_max_f32_e32 v9, v9, v9
	v_max_f32_e32 v3, v3, v9
	;; [unrolled: 4-line block ×3, first 2 shown]
	v_add_f32_e32 v3, v11, v8
	v_div_scale_f32 v12, null, 0x42fe0000, 0x42fe0000, v9
	ds_bpermute_b32 v10, v10, v3
	v_div_scale_f32 v11, vcc_lo, v9, 0x42fe0000, v9
	v_rcp_f32_e32 v13, v12
	v_fma_f32 v8, -v12, v13, 1.0
	v_fmac_f32_e32 v13, v8, v13
	s_waitcnt lgkmcnt(0)
	v_add_f32_e32 v3, v3, v10
	v_mul_f32_e32 v14, v11, v13
	v_fma_f32 v8, -v12, v14, v11
	v_fmac_f32_e32 v14, v8, v13
	ds_bpermute_b32 v8, v2, v3
	v_fma_f32 v2, -v12, v14, v11
	v_div_fmas_f32 v2, v2, v13, v14
	v_div_fixup_f32 v2, v2, 0x42fe0000, v9
	v_mov_b32_e32 v9, 0
	v_cmpx_neq_f32_e32 0, v2
	s_cbranch_execz .LBB0_13
; %bb.12:
	v_div_scale_f32 v9, null, v2, v2, v5
	v_div_scale_f32 v10, null, v2, v2, v4
	;; [unrolled: 1-line block ×3, first 2 shown]
	v_rcp_f32_e32 v11, v9
	v_div_scale_f32 v13, null, v2, v2, v6
	v_rcp_f32_e32 v14, v10
	v_rcp_f32_e32 v15, v12
	v_div_scale_f32 v20, vcc_lo, v5, v2, v5
	v_rcp_f32_e32 v17, v13
	v_fma_f32 v18, -v9, v11, 1.0
	v_fma_f32 v19, -v10, v14, 1.0
	;; [unrolled: 1-line block ×3, first 2 shown]
	v_fmac_f32_e32 v11, v18, v11
	v_div_scale_f32 v18, s1, v4, v2, v4
	v_fma_f32 v22, -v13, v17, 1.0
	v_fmac_f32_e32 v14, v19, v14
	v_fmac_f32_e32 v15, v21, v15
	v_div_scale_f32 v19, s2, v7, v2, v7
	v_fmac_f32_e32 v17, v22, v17
	v_mul_f32_e32 v22, v20, v11
	v_mul_f32_e32 v23, v18, v14
	;; [unrolled: 1-line block ×3, first 2 shown]
	v_div_scale_f32 v21, s3, v6, v2, v6
	v_fma_f32 v26, -v9, v22, v20
	v_fma_f32 v27, -v10, v23, v18
	;; [unrolled: 1-line block ×3, first 2 shown]
	v_mul_f32_e32 v25, v21, v17
	v_fmac_f32_e32 v22, v26, v11
	v_fmac_f32_e32 v23, v27, v14
	;; [unrolled: 1-line block ×3, first 2 shown]
	v_fma_f32 v29, -v13, v25, v21
	v_fma_f32 v9, -v9, v22, v20
	;; [unrolled: 1-line block ×4, first 2 shown]
	v_fmac_f32_e32 v25, v29, v17
	v_div_fmas_f32 v9, v9, v11, v22
	s_mov_b32 vcc_lo, s1
	v_div_fmas_f32 v10, v10, v14, v23
	s_mov_b32 vcc_lo, s2
	v_div_fixup_f32 v5, v9, v2, v5
	v_div_fmas_f32 v11, v12, v15, v24
	v_fma_f32 v12, -v13, v25, v21
	s_mov_b32 vcc_lo, s3
	v_div_fixup_f32 v4, v10, v2, v4
	v_div_fixup_f32 v7, v11, v2, v7
	v_div_fmas_f32 v11, v12, v17, v25
	v_trunc_f32_e32 v10, v4
	v_trunc_f32_e32 v12, v7
	v_div_fixup_f32 v6, v11, v2, v6
	v_trunc_f32_e32 v11, v5
	v_sub_f32_e32 v14, v4, v10
	v_sub_f32_e32 v9, v7, v12
	v_trunc_f32_e32 v13, v6
	v_sub_f32_e32 v17, v5, v11
	v_cmp_ge_f32_e64 s1, |v9|, 0.5
	v_sub_f32_e32 v15, v6, v13
	v_cndmask_b32_e64 v9, 0, 1.0, s1
	v_cmp_ge_f32_e64 s1, |v14|, 0.5
	v_bfi_b32 v7, 0x7fffffff, v9, v7
	v_cndmask_b32_e64 v9, 0, 1.0, s1
	v_cmp_ge_f32_e64 s1, |v15|, 0.5
	v_add_f32_e32 v7, v12, v7
	v_bfi_b32 v4, 0x7fffffff, v9, v4
	v_cndmask_b32_e64 v14, 0, 1.0, s1
	v_cmp_ge_f32_e64 s1, |v17|, 0.5
	v_mov_b32_e32 v9, 8
	v_cvt_i32_f32_e32 v7, v7
	v_add_f32_e32 v4, v10, v4
	v_bfi_b32 v6, 0x7fffffff, v14, v6
	v_cndmask_b32_e64 v12, 0, 1.0, s1
	v_and_b32_e32 v7, 0xff, v7
	v_cvt_i32_f32_e32 v4, v4
	v_add_f32_e32 v6, v13, v6
	v_bfi_b32 v5, 0x7fffffff, v12, v5
	v_lshlrev_b32_e32 v7, 16, v7
	v_lshlrev_b32_sdwa v4, v9, v4 dst_sel:DWORD dst_unused:UNUSED_PAD src0_sel:DWORD src1_sel:BYTE_0
	v_cvt_i32_f32_e32 v6, v6
	v_add_f32_e32 v5, v11, v5
	v_lshl_or_b32 v6, v6, 24, v7
	v_cvt_i32_f32_e32 v5, v5
	v_and_b32_e32 v5, 0xff, v5
	v_or3_b32 v9, v6, v4, v5
.LBB0_13:
	s_or_b32 exec_lo, exec_lo, s8
	v_and_b32_e32 v4, 0x77, v0
	v_lshlrev_b32_e32 v5, 2, v0
	v_cmp_eq_u32_e32 vcc_lo, 0, v4
	ds_write_b32 v5, v9
	s_and_b32 exec_lo, exec_lo, vcc_lo
	s_cbranch_execz .LBB0_15
; %bb.14:
	s_waitcnt lgkmcnt(1)
	v_add_f32_e32 v3, v3, v8
	ds_write_b64 v0, v[2:3] offset:64
.LBB0_15:
	s_or_b32 exec_lo, exec_lo, s25
	v_and_b32_e32 v14, 1, v0
	v_mov_b32_e32 v21, 0
	s_waitcnt lgkmcnt(0)
	s_barrier
	buffer_gl0_inv
	v_lshlrev_b32_e32 v28, 2, v14
	s_ashr_i32 s31, s30, 31
	s_ashr_i32 s1, s40, 31
	;; [unrolled: 1-line block ×3, first 2 shown]
	s_cmp_eq_u64 s[18:19], 0
	ds_read2_b32 v[6:7], v28 offset1:2
	ds_read2_b32 v[8:9], v28 offset0:4 offset1:6
	ds_read2_b32 v[10:11], v28 offset0:8 offset1:10
	;; [unrolled: 1-line block ×3, first 2 shown]
	ds_read_b128 v[2:5], v21 offset:64
	s_waitcnt lgkmcnt(0)
	s_barrier
	buffer_gl0_inv
	s_cbranch_scc1 .LBB0_17
; %bb.16:
	s_load_dword s2, s[4:5], 0xd0
	s_mov_b32 s3, 0
	s_waitcnt lgkmcnt(0)
	s_mul_i32 s2, s2, s33
	s_add_i32 s2, s2, s6
	s_lshl_b64 s[2:3], s[2:3], 2
	s_add_u32 s2, s18, s2
	s_addc_u32 s3, s19, s3
	s_load_dword s34, s[2:3], 0x0
.LBB0_17:
	v_lshlrev_b32_e32 v15, 5, v1
	v_mbcnt_lo_u32_b32 v20, -1, 0
	v_lshlrev_b32_e32 v19, 2, v0
	s_lshl_b32 s2, s7, 7
	s_mov_b32 s3, 0
	v_add_nc_u32_e32 v17, v15, v0
	s_waitcnt lgkmcnt(0)
	s_cmp_ge_i32 s2, s34
	v_lshlrev_b32_e32 v18, 1, v17
	s_cbranch_scc1 .LBB0_25
; %bb.18:
	s_clause 0x1
	s_load_dwordx4 s[24:27], s[4:5], 0x98
	s_load_dwordx2 s[18:19], s[4:5], 0x8c
	s_xor_b32 s40, s31, s1
	s_mul_i32 s1, s41, s38
	s_add_i32 s43, s41, 1
	s_sub_i32 s1, s36, s1
	s_mul_i32 s42, s42, s35
	s_sub_i32 s44, s1, s38
	s_mul_i32 s48, s37, s6
	v_and_b32_e32 v21, 0x7e, v0
	v_lshrrev_b32_e32 v22, 4, v0
	v_bfe_u32 v23, v0, 3, 1
	v_and_b32_e32 v24, 12, v19
	v_add_nc_u32_e32 v21, v15, v21
	v_or_b32_e32 v27, v15, v22
	v_add_nc_u32_e32 v29, v15, v22
	v_mul_hi_u32_u24_e32 v15, 18, v23
	v_lshlrev_b32_e32 v22, 1, v21
	s_waitcnt lgkmcnt(0)
	s_mul_hi_u32 s8, s24, s33
	s_mul_i32 s9, s24, s45
	s_mul_i32 s25, s25, s33
	s_add_i32 s8, s8, s9
	v_add_nc_u32_e32 v25, 30, v29
	s_add_i32 s25, s8, s25
	s_cmp_ge_u32 s1, s38
	s_clause 0x2
	s_load_dwordx2 s[36:37], s[4:5], 0xa8
	s_load_dwordx2 s[8:9], s[4:5], 0xc8
	s_load_dword s46, s[4:5], 0xd4
	s_cselect_b32 s41, s43, s41
	s_cselect_b32 s1, s44, s1
	s_add_i32 s43, s41, 1
	s_cmp_ge_u32 s1, s38
	v_cmp_eq_u32_e64 s1, 0, v14
	s_cselect_b32 s38, s43, s41
	s_sub_i32 s41, s39, s42
	s_xor_b32 s38, s38, s40
	s_sub_i32 s42, s41, s35
	s_sub_i32 s38, s38, s40
	v_mul_u32_u24_e32 v14, 18, v23
	s_mul_i32 s39, s38, s19
	s_mul_i32 s27, s38, s27
	s_ashr_i32 s40, s39, 31
	s_ashr_i32 s38, s27, 31
	s_cmp_ge_u32 s41, s35
	v_mul_lo_u32 v25, s26, v25
	s_cselect_b32 s19, s42, s41
	v_add_nc_u32_e32 v32, 26, v29
	s_sub_i32 s41, s19, s35
	s_cmp_ge_u32 s19, s35
	s_mul_i32 s35, s24, s33
	s_cselect_b32 s19, s41, s19
	s_ashr_i32 s49, s48, 31
	s_xor_b32 s19, s19, s45
	v_ashrrev_i32_e32 v31, 31, v25
	s_sub_i32 s19, s19, s45
	v_add_nc_u32_e32 v33, 24, v29
	s_ashr_i32 s24, s19, 31
	s_waitcnt lgkmcnt(0)
	s_mul_hi_u32 s41, s8, s19
	s_mul_i32 s24, s8, s24
	s_mul_i32 s9, s9, s19
	s_add_i32 s24, s41, s24
	v_mul_lo_u32 v32, s26, v32
	s_add_i32 s24, s24, s9
	s_cmp_lg_u64 s[14:15], 0
	s_mul_i32 s9, s8, s19
	s_cselect_b32 s19, -1, 0
	s_lshl_b32 s8, s46, 7
	s_add_u32 s43, s10, s39
	s_addc_u32 s44, s11, s40
	s_add_u32 s41, s43, s35
	s_addc_u32 s42, s44, s25
	s_lshl_b64 s[46:47], s[2:3], 1
	v_add_nc_u32_e32 v34, 22, v29
	s_add_u32 s9, s9, s46
	s_addc_u32 s24, s24, s47
	s_add_u32 s14, s14, s48
	s_addc_u32 s15, s15, s49
	;; [unrolled: 2-line block ×3, first 2 shown]
	v_add_co_u32 v26, s9, s9, v22
	v_mad_u64_u32 v[22:23], null, s36, s33, v[14:15]
	v_add_co_ci_u32_e64 v30, null, s14, 0, s9
	s_mul_i32 s9, s37, s33
	s_mul_i32 s14, s36, s45
	v_add_co_u32 v14, vcc_lo, v26, 2
	v_add_nc_u32_e32 v26, 28, v29
	v_add3_u32 v23, s14, s9, v23
	v_add_co_ci_u32_e64 v15, null, 0, v30, vcc_lo
	v_add_co_u32 v24, vcc_lo, v22, v24
	v_mul_lo_u32 v26, s26, v26
	v_add_co_ci_u32_e64 v30, null, 0, v23, vcc_lo
	v_add_co_u32 v35, vcc_lo, v24, v25
	v_add_nc_u32_e32 v37, 20, v29
	v_add_co_ci_u32_e64 v36, null, v30, v31, vcc_lo
	v_add_co_u32 v39, vcc_lo, v22, v25
	v_mul_lo_u32 v33, s26, v33
	v_add_co_ci_u32_e64 v40, null, v23, v31, vcc_lo
	v_ashrrev_i32_e32 v31, 31, v26
	v_add_co_u32 v61, vcc_lo, v24, v26
	v_mul_lo_u32 v34, s26, v34
	v_mul_lo_u32 v25, s26, v37
	v_ashrrev_i32_e32 v37, 31, v32
	v_add_co_ci_u32_e64 v62, null, v30, v31, vcc_lo
	v_add_co_u32 v63, vcc_lo, v22, v26
	v_add_nc_u32_e32 v38, 18, v29
	v_add_co_ci_u32_e64 v64, null, v23, v31, vcc_lo
	v_add_co_u32 v65, vcc_lo, v24, v32
	v_ashrrev_i32_e32 v41, 31, v33
	v_add_co_ci_u32_e64 v66, null, v30, v37, vcc_lo
	v_add_co_u32 v67, vcc_lo, v22, v32
	v_add_nc_u32_e32 v42, 16, v29
	v_add_co_ci_u32_e64 v68, null, v23, v37, vcc_lo
	v_add_co_u32 v69, vcc_lo, v24, v33
	v_mul_lo_u32 v38, s26, v38
	v_ashrrev_i32_e32 v43, 31, v34
	v_add_co_ci_u32_e64 v70, null, v30, v41, vcc_lo
	v_add_co_u32 v71, vcc_lo, v22, v33
	v_add_nc_u32_e32 v44, 14, v29
	v_add_co_ci_u32_e64 v72, null, v23, v41, vcc_lo
	v_add_co_u32 v73, vcc_lo, v24, v34
	v_ashrrev_i32_e32 v45, 31, v25
	v_mul_lo_u32 v42, s26, v42
	v_add_co_ci_u32_e64 v74, null, v30, v43, vcc_lo
	v_add_co_u32 v75, vcc_lo, v22, v34
	v_add_nc_u32_e32 v46, 12, v29
	v_add_co_ci_u32_e64 v76, null, v23, v43, vcc_lo
	v_add_co_u32 v77, vcc_lo, v24, v25
	v_ashrrev_i32_e32 v47, 31, v38
	v_mul_lo_u32 v44, s26, v44
	v_add_co_ci_u32_e64 v78, null, v30, v45, vcc_lo
	v_add_co_u32 v79, vcc_lo, v22, v25
	v_add_nc_u32_e32 v48, 10, v29
	v_add_co_ci_u32_e64 v80, null, v23, v45, vcc_lo
	v_add_co_u32 v81, vcc_lo, v24, v38
	v_mul_lo_u32 v46, s26, v46
	v_ashrrev_i32_e32 v53, 31, v42
	v_add_co_ci_u32_e64 v82, null, v30, v47, vcc_lo
	v_add_co_u32 v83, vcc_lo, v22, v38
	v_add_nc_u32_e32 v49, 8, v29
	v_add_co_ci_u32_e64 v84, null, v23, v47, vcc_lo
	v_add_co_u32 v85, vcc_lo, v24, v42
	v_mul_lo_u32 v48, s26, v48
	v_ashrrev_i32_e32 v54, 31, v44
	;; [unrolled: 7-line block ×5, first 2 shown]
	v_add_co_ci_u32_e64 v98, null, v30, v56, vcc_lo
	v_add_co_u32 v99, vcc_lo, v22, v48
	v_add_co_ci_u32_e64 v100, null, v23, v56, vcc_lo
	v_add_co_u32 v101, vcc_lo, v24, v49
	v_mul_lo_u32 v52, s26, v52
	v_ashrrev_i32_e32 v58, 31, v50
	v_add_co_ci_u32_e64 v102, null, v30, v57, vcc_lo
	v_add_co_u32 v103, vcc_lo, v22, v49
	v_add_co_ci_u32_e64 v104, null, v23, v57, vcc_lo
	v_add_co_u32 v105, vcc_lo, v24, v50
	v_ashrrev_i32_e32 v59, 31, v51
	v_add_co_ci_u32_e64 v106, null, v30, v58, vcc_lo
	v_add_co_u32 v107, vcc_lo, v22, v50
	v_add_co_ci_u32_e64 v108, null, v23, v58, vcc_lo
	v_add_co_u32 v109, vcc_lo, v24, v51
	;; [unrolled: 5-line block ×3, first 2 shown]
	v_add_co_ci_u32_e64 v114, null, v30, v60, vcc_lo
	v_add_co_u32 v115, vcc_lo, v22, v52
	v_mul_lo_u32 v25, s26, v29
	v_add_co_ci_u32_e64 v116, null, v23, v60, vcc_lo
	v_add_co_u32 v24, vcc_lo, v24, s27
	v_add_co_ci_u32_e64 v26, null, s38, v30, vcc_lo
	v_and_b32_e32 v30, 30, v20
	v_ashrrev_i32_e32 v31, 31, v25
	v_xor_b32_e32 v32, 1, v20
	v_add_co_u32 v22, vcc_lo, v22, s27
	v_add_nc_u32_e32 v30, 2, v30
	v_add_co_ci_u32_e64 v23, null, s38, v23, vcc_lo
	v_add_co_u32 v117, vcc_lo, v24, v25
	v_add_co_ci_u32_e64 v118, null, v26, v31, vcc_lo
	v_cmp_lt_i32_e32 vcc_lo, v32, v30
	v_mul_lo_u32 v21, v21, s18
	v_xor_b32_e32 v26, 16, v20
	s_mov_b32 s9, s3
	v_add_co_u32 v30, s3, s35, v28
	v_cndmask_b32_e32 v24, v20, v32, vcc_lo
	v_add_co_u32 v119, vcc_lo, v22, v25
	v_add_co_ci_u32_e64 v120, null, v23, v31, vcc_lo
	v_xor_b32_e32 v23, 2, v20
	v_lshlrev_b32_e32 v22, 2, v24
	v_xor_b32_e32 v24, 4, v20
	v_xor_b32_e32 v25, 8, v20
	v_add_nc_u32_e32 v31, s18, v21
	v_cmp_gt_i32_e32 vcc_lo, 32, v23
	v_add_co_ci_u32_e64 v33, null, s25, 0, s3
	v_lshlrev_b32_e32 v28, 1, v29
	v_ashrrev_i32_e32 v32, 31, v31
	v_cndmask_b32_e32 v23, v20, v23, vcc_lo
	v_cmp_gt_i32_e32 vcc_lo, 32, v24
	v_ashrrev_i32_e32 v38, 31, v21
	s_lshl_b64 s[14:15], s[8:9], 1
	s_add_u32 s3, s35, s39
	s_addc_u32 s9, s25, s40
	v_cndmask_b32_e32 v24, v20, v24, vcc_lo
	v_cmp_gt_i32_e32 vcc_lo, 32, v25
	s_add_u32 s3, s10, s3
	s_addc_u32 s9, s11, s9
	v_lshlrev_b32_e32 v23, 2, v23
	v_lshlrev_b32_e32 v24, 2, v24
	v_cndmask_b32_e32 v25, v20, v25, vcc_lo
	v_cmp_gt_i32_e32 vcc_lo, 32, v26
	v_lshlrev_b32_e32 v27, 1, v27
	s_mul_i32 s24, s26, s2
	v_lshlrev_b32_e32 v25, 2, v25
	v_cndmask_b32_e32 v26, v20, v26, vcc_lo
	v_add_co_u32 v29, vcc_lo, v30, v31
	v_add_co_ci_u32_e64 v34, null, v33, v32, vcc_lo
	v_add_co_u32 v37, vcc_lo, v30, s39
	v_add_co_ci_u32_e64 v33, null, s40, v33, vcc_lo
	;; [unrolled: 2-line block ×6, first 2 shown]
	v_add_co_u32 v21, vcc_lo, s3, v21
	s_add_u32 s3, s12, s27
	v_add_co_ci_u32_e64 v37, null, s9, v38, vcc_lo
	s_addc_u32 s9, s13, s38
	v_add_co_u32 v38, vcc_lo, s3, v35
	v_add_co_ci_u32_e64 v41, null, s9, v36, vcc_lo
	v_add_co_u32 v35, vcc_lo, v21, 18
	v_add_co_ci_u32_e64 v36, null, 0, v37, vcc_lo
	;; [unrolled: 2-line block ×48, first 2 shown]
	v_add_co_u32 v99, vcc_lo, s12, v119
	v_lshlrev_b32_e32 v26, 2, v26
	v_add_co_ci_u32_e64 v100, null, s13, v120, vcc_lo
	v_mov_b32_e32 v21, 0
	v_and_b32_e32 v101, 4, v0
	v_mov_b32_e32 v106, 0xfeffffff
	v_mov_b32_e32 v104, 0
	v_mov_b32_e32 v102, 0x10001
	v_mov_b32_e32 v105, 0
	s_mul_i32 s3, s18, s2
	s_mul_i32 s9, s8, s18
	;; [unrolled: 1-line block ×3, first 2 shown]
.LBB0_19:                               ; =>This Inner Loop Header: Depth=1
	v_add_co_u32 v107, vcc_lo, v33, s3
	v_add_co_ci_u32_e64 v108, null, 0, v34, vcc_lo
	v_mov_b32_e32 v113, 0
	v_mov_b32_e32 v114, 0
	;; [unrolled: 1-line block ×3, first 2 shown]
	s_clause 0x3
	global_load_dword v103, v[107:108], off offset:2
	global_load_dword v109, v[107:108], off offset:10
	;; [unrolled: 1-line block ×4, first 2 shown]
	v_add_co_u32 v107, vcc_lo, v35, s3
	v_add_co_ci_u32_e64 v108, null, 0, v36, vcc_lo
	v_mov_b32_e32 v116, 0
	v_mov_b32_e32 v117, 0
	s_clause 0x1
	global_load_ushort v112, v[107:108], off offset:-18
	global_load_ushort v107, v[107:108], off
	v_mov_b32_e32 v108, 0
	v_mov_b32_e32 v119, 0
	;; [unrolled: 1-line block ×3, first 2 shown]
	s_and_b32 vcc_lo, exec_lo, s19
	s_waitcnt vmcnt(5)
	v_and_b32_e32 v118, 0xf0f0f0f, v103
	s_waitcnt vmcnt(4)
	v_and_b32_e32 v121, 0xf0f0f0f, v109
	v_lshrrev_b32_e32 v103, 4, v103
	v_lshrrev_b32_e32 v109, 4, v109
	v_dot4c_i32_i8 v108, v118, v6
	v_dot4c_i32_i8 v113, v121, v7
	v_and_b32_e32 v103, 0xf0f0f0f, v103
	v_and_b32_e32 v109, 0xf0f0f0f, v109
	s_waitcnt vmcnt(3)
	v_and_b32_e32 v118, 0xf0f0f0f, v110
	v_cvt_f32_i32_e32 v108, v108
	v_cvt_f32_i32_e32 v113, v113
	v_dot4c_i32_i8 v114, v103, v8
	v_dot4c_i32_i8 v115, v109, v9
	s_waitcnt vmcnt(2)
	v_and_b32_e32 v121, 0xf0f0f0f, v111
	v_fma_f32 v103, v2, v108, -v3
	v_lshrrev_b32_e32 v108, 4, v110
	v_fma_f32 v109, v2, v113, -v3
	v_cvt_f32_i32_e32 v110, v114
	v_dot4c_i32_i8 v116, v118, v10
	s_waitcnt vmcnt(1)
	v_fma_mix_f32 v103, v103, v112, 0 op_sel_hi:[0,1,0]
	v_cvt_f32_i32_e32 v113, v115
	v_lshrrev_b32_e32 v111, 4, v111
	v_fma_f32 v110, v2, v110, -v3
	v_dot4c_i32_i8 v117, v121, v11
	v_fma_mix_f32 v103, v109, v112, v103 op_sel_hi:[0,1,0]
	v_and_b32_e32 v108, 0xf0f0f0f, v108
	v_cvt_f32_i32_e32 v109, v116
	v_fma_f32 v113, v2, v113, -v3
	v_fma_mix_f32 v103, v110, v112, v103 op_sel_hi:[0,1,0]
	v_and_b32_e32 v110, 0xf0f0f0f, v111
	v_cvt_f32_i32_e32 v111, v117
	v_dot4c_i32_i8 v119, v108, v12
	v_fma_f32 v108, v4, v109, -v5
	v_fma_mix_f32 v103, v113, v112, v103 op_sel_hi:[0,1,0]
	v_dot4c_i32_i8 v120, v110, v13
	v_fma_f32 v109, v4, v111, -v5
	v_cvt_f32_i32_e32 v110, v119
	s_waitcnt vmcnt(0)
	v_fma_mix_f32 v103, v108, v107, v103 op_sel_hi:[0,1,0]
	v_cvt_f32_i32_e32 v108, v120
	v_fma_f32 v110, v4, v110, -v5
	v_fma_mix_f32 v103, v109, v107, v103 op_sel_hi:[0,1,0]
	v_fma_f32 v108, v4, v108, -v5
	v_fma_mix_f32 v103, v110, v107, v103 op_sel_hi:[0,1,0]
	v_fma_mix_f32 v103, v108, v107, v103 op_sel_hi:[0,1,0]
	ds_bpermute_b32 v107, v22, v103
	s_waitcnt lgkmcnt(0)
	v_add_f32_e32 v107, v103, v107
	s_cbranch_vccz .LBB0_21
; %bb.20:                               ;   in Loop: Header=BB0_19 Depth=1
	global_load_ushort v103, v[14:15], off offset:-2
	s_waitcnt vmcnt(0)
	v_fma_mix_f32 v107, v16, v103, v107 op_sel_hi:[0,1,0]
.LBB0_21:                               ;   in Loop: Header=BB0_19 Depth=1
	v_add_co_u32 v108, vcc_lo, v29, s3
	v_add_co_ci_u32_e64 v109, null, 0, v30, vcc_lo
	v_add_co_u32 v110, vcc_lo, v31, s3
	v_add_co_ci_u32_e64 v111, null, 0, v32, vcc_lo
	s_clause 0x3
	global_load_dword v103, v[108:109], off offset:2
	global_load_dword v112, v[108:109], off offset:10
	;; [unrolled: 1-line block ×4, first 2 shown]
	s_clause 0x1
	global_load_ushort v109, v[110:111], off
	global_load_ushort v110, v[110:111], off offset:18
	v_mov_b32_e32 v111, 0
	v_mov_b32_e32 v114, 0
	v_mov_b32_e32 v115, 0
	v_mov_b32_e32 v116, 0
	v_mov_b32_e32 v117, 0
	v_mov_b32_e32 v119, 0
	v_mov_b32_e32 v120, 0
	s_andn2_b32 vcc_lo, exec_lo, s19
	s_waitcnt vmcnt(5)
	v_and_b32_e32 v118, 0xf0f0f0f, v103
	s_waitcnt vmcnt(4)
	v_and_b32_e32 v121, 0xf0f0f0f, v112
	v_lshrrev_b32_e32 v103, 4, v103
	v_lshrrev_b32_e32 v112, 4, v112
	v_dot4c_i32_i8 v111, v118, v6
	v_dot4c_i32_i8 v114, v121, v7
	v_and_b32_e32 v103, 0xf0f0f0f, v103
	v_and_b32_e32 v112, 0xf0f0f0f, v112
	s_waitcnt vmcnt(3)
	v_and_b32_e32 v121, 0xf0f0f0f, v113
	v_cvt_f32_i32_e32 v111, v111
	v_cvt_f32_i32_e32 v114, v114
	v_dot4c_i32_i8 v115, v103, v8
	v_dot4c_i32_i8 v116, v112, v9
	v_lshrrev_b32_e32 v113, 4, v113
	v_fma_f32 v103, v2, v111, -v3
	v_fma_f32 v112, v2, v114, -v3
	v_cvt_f32_i32_e32 v114, v115
	s_waitcnt vmcnt(2)
	v_and_b32_e32 v111, 0xf0f0f0f, v108
	v_dot4c_i32_i8 v117, v121, v10
	s_waitcnt vmcnt(1)
	v_fma_mix_f32 v103, v103, v109, 0 op_sel_hi:[0,1,0]
	v_cvt_f32_i32_e32 v115, v116
	v_fma_f32 v114, v2, v114, -v3
	v_lshrrev_b32_e32 v108, 4, v108
	v_dot4c_i32_i8 v119, v111, v11
	v_fma_mix_f32 v103, v112, v109, v103 op_sel_hi:[0,1,0]
	v_cvt_f32_i32_e32 v111, v117
	v_fma_f32 v112, v2, v115, -v3
	v_and_b32_e32 v113, 0xf0f0f0f, v113
	v_mov_b32_e32 v118, 0
	v_fma_mix_f32 v103, v114, v109, v103 op_sel_hi:[0,1,0]
	v_and_b32_e32 v108, 0xf0f0f0f, v108
	v_cvt_f32_i32_e32 v114, v119
	v_fma_f32 v111, v4, v111, -v5
	v_dot4c_i32_i8 v120, v113, v12
	v_fma_mix_f32 v103, v112, v109, v103 op_sel_hi:[0,1,0]
	v_dot4c_i32_i8 v118, v108, v13
	v_fma_f32 v108, v4, v114, -v5
	v_cvt_f32_i32_e32 v109, v120
	s_waitcnt vmcnt(0)
	v_fma_mix_f32 v103, v111, v110, v103 op_sel_hi:[0,1,0]
	v_cvt_f32_i32_e32 v111, v118
	v_fma_mix_f32 v103, v108, v110, v103 op_sel_hi:[0,1,0]
	v_fma_f32 v108, v4, v109, -v5
	v_fma_f32 v109, v4, v111, -v5
	v_fma_mix_f32 v103, v108, v110, v103 op_sel_hi:[0,1,0]
	v_fma_mix_f32 v103, v109, v110, v103 op_sel_hi:[0,1,0]
	ds_bpermute_b32 v108, v22, v103
	s_waitcnt lgkmcnt(0)
	v_add_f32_e32 v108, v103, v108
	s_cbranch_vccnz .LBB0_23
; %bb.22:                               ;   in Loop: Header=BB0_19 Depth=1
	global_load_ushort v103, v[14:15], off
	s_waitcnt vmcnt(0)
	v_fma_mix_f32 v108, v16, v103, v108 op_sel_hi:[0,1,0]
.LBB0_23:                               ;   in Loop: Header=BB0_19 Depth=1
	v_add_f32_e32 v103, 0x40051340, v107
	v_add_f32_e32 v109, 0x40051340, v108
	v_cndmask_b32_e64 v107, v108, v107, s1
	s_add_i32 s2, s2, s8
	s_cmp_ge_i32 s2, s34
	v_max3_f32 v103, v106, v103, v109
	ds_bpermute_b32 v109, v23, v103
	s_waitcnt lgkmcnt(0)
	v_max_f32_e32 v109, v109, v109
	v_max_f32_e32 v103, v103, v109
	ds_bpermute_b32 v109, v24, v103
	s_waitcnt lgkmcnt(0)
	v_max_f32_e32 v109, v109, v109
	v_max_f32_e32 v103, v103, v109
	;; [unrolled: 4-line block ×4, first 2 shown]
	v_sub_f32_e32 v106, v106, v103
	v_sub_f32_e32 v107, v107, v103
	v_mul_f32_e32 v108, 0x3fb8aa3b, v106
	v_cmp_ngt_f32_e32 vcc_lo, 0xc2ce8ed0, v106
	v_fma_f32 v109, 0x3fb8aa3b, v106, -v108
	v_rndne_f32_e32 v110, v108
	v_fmac_f32_e32 v109, 0x32a5705f, v106
	v_sub_f32_e32 v108, v108, v110
	v_add_f32_e32 v108, v108, v109
	v_cvt_i32_f32_e32 v109, v110
	v_exp_f32_e32 v108, v108
	v_ldexp_f32 v108, v108, v109
	v_cndmask_b32_e32 v108, 0, v108, vcc_lo
	v_cmp_nlt_f32_e32 vcc_lo, 0x42b17218, v106
	v_cndmask_b32_e32 v106, 0x7f800000, v108, vcc_lo
	v_mul_f32_e32 v108, 0x3fb8aa3b, v107
	v_cmp_ngt_f32_e32 vcc_lo, 0xc2ce8ed0, v107
	v_fma_f32 v109, 0x3fb8aa3b, v107, -v108
	v_rndne_f32_e32 v110, v108
	v_fmac_f32_e32 v109, 0x32a5705f, v107
	v_sub_f32_e32 v108, v108, v110
	v_add_f32_e32 v108, v108, v109
	v_cvt_i32_f32_e32 v109, v110
	v_exp_f32_e32 v108, v108
	v_ldexp_f32 v108, v108, v109
	v_cndmask_b32_e32 v108, 0, v108, vcc_lo
	v_cmp_nlt_f32_e32 vcc_lo, 0x42b17218, v107
	v_cndmask_b32_e32 v107, 0x7f800000, v108, vcc_lo
	v_fma_f32 v21, v21, v106, v107
	v_cvt_f16_f32_e32 v106, v106
	v_mul_u32_u24_sdwa v106, v106, v102 dst_sel:DWORD dst_unused:UNUSED_PAD src0_sel:WORD_0 src1_sel:DWORD
	v_pk_mul_f16 v111, v104, v106
	v_cvt_f16_f32_e32 v104, v107
	v_pk_mul_f16 v109, v105, v106
	ds_write_b16 v18, v104
	ds_read_u16 v104, v27
	ds_read_u16 v117, v27 offset:16
	ds_read_u16 v110, v27 offset:32
	;; [unrolled: 1-line block ×3, first 2 shown]
	s_waitcnt lgkmcnt(3)
	v_mul_u32_u24_e32 v112, 0x10001, v104
	v_add_co_u32 v104, vcc_lo, v99, s24
	v_add_co_ci_u32_e64 v105, null, 0, v100, vcc_lo
	v_add_co_u32 v107, vcc_lo, v97, s24
	v_add_co_ci_u32_e64 v108, null, 0, v98, vcc_lo
	global_load_ushort v104, v[104:105], off
	s_waitcnt lgkmcnt(2)
	v_mul_u32_u24_e32 v117, 0x10001, v117
	s_waitcnt lgkmcnt(1)
	v_mul_u32_u24_e32 v110, 0x10001, v110
	global_load_dword v107, v[107:108], off
	s_waitcnt lgkmcnt(0)
	v_mul_u32_u24_e32 v106, 0x10001, v106
	s_waitcnt vmcnt(1)
	v_mul_u32_u24_e32 v104, 0x10001, v104
	s_waitcnt vmcnt(0)
	v_ashrrev_i32_e32 v107, v101, v107
	v_and_b32_e32 v107, 0xf0f0f0f, v107
	v_lshrrev_b32_e32 v108, 16, v107
	v_and_b32_e32 v113, 0xf00, v108
	v_lshlrev_b16 v108, 8, v108
	v_add_nc_u16 v108, 0xf800, v108
	v_or_b32_sdwa v108, v113, v108 dst_sel:DWORD dst_unused:UNUSED_PAD src0_sel:DWORD src1_sel:BYTE_1
	v_and_b32_e32 v113, 0xf00, v107
	v_lshlrev_b16 v107, 8, v107
	v_add_nc_u16 v108, 0xf800, v108
	v_add_nc_u16 v107, 0xf800, v107
	v_or_b32_sdwa v107, v113, v107 dst_sel:DWORD dst_unused:UNUSED_PAD src0_sel:DWORD src1_sel:BYTE_1
	v_add_nc_u16 v107, 0xf800, v107
	v_lshrrev_b32_e32 v105, 8, v107
	v_cvt_f16_i16_sdwa v107, sext(v107) dst_sel:DWORD dst_unused:UNUSED_PAD src0_sel:BYTE_0
	v_cvt_f16_i16_sdwa v105, sext(v105) dst_sel:DWORD dst_unused:UNUSED_PAD src0_sel:BYTE_0
	v_pack_b32_f16 v105, v107, v105
	v_lshrrev_b32_e32 v107, 8, v108
	v_cvt_f16_i16_sdwa v108, sext(v108) dst_sel:DWORD dst_unused:UNUSED_PAD src0_sel:BYTE_0
	v_pk_mul_f16 v105, v105, v104
	v_cvt_f16_i16_sdwa v107, sext(v107) dst_sel:DWORD dst_unused:UNUSED_PAD src0_sel:BYTE_0
	v_pk_fma_f16 v118, v105, v112, v109
	v_pack_b32_f16 v107, v108, v107
	v_pk_mul_f16 v104, v107, v104
	v_pk_fma_f16 v119, v104, v112, v111
	ds_read_u16 v113, v28 offset:4
	ds_read_u16 v120, v28 offset:8
	;; [unrolled: 1-line block ×12, first 2 shown]
	s_waitcnt lgkmcnt(11)
	v_mul_u32_u24_e32 v124, 0x10001, v113
	v_add_co_u32 v113, vcc_lo, v95, s24
	v_add_co_ci_u32_e64 v114, null, 0, v96, vcc_lo
	v_add_co_u32 v115, vcc_lo, v93, s24
	v_add_co_ci_u32_e64 v116, null, 0, v94, vcc_lo
	global_load_ushort v113, v[113:114], off
	s_waitcnt lgkmcnt(10)
	v_mul_u32_u24_e32 v120, 0x10001, v120
	s_waitcnt lgkmcnt(0)
	v_mul_u32_u24_e32 v104, 0x10001, v104
	global_load_dword v115, v[115:116], off
	s_waitcnt vmcnt(1)
	v_mul_u32_u24_e32 v113, 0x10001, v113
	s_waitcnt vmcnt(0)
	v_ashrrev_i32_e32 v115, v101, v115
	v_and_b32_e32 v115, 0xf0f0f0f, v115
	v_lshrrev_b32_e32 v116, 16, v115
	v_and_b32_e32 v125, 0xf00, v116
	v_lshlrev_b16 v116, 8, v116
	v_add_nc_u16 v116, 0xf800, v116
	v_or_b32_sdwa v116, v125, v116 dst_sel:DWORD dst_unused:UNUSED_PAD src0_sel:DWORD src1_sel:BYTE_1
	v_and_b32_e32 v125, 0xf00, v115
	v_lshlrev_b16 v115, 8, v115
	v_add_nc_u16 v116, 0xf800, v116
	v_add_nc_u16 v115, 0xf800, v115
	v_or_b32_sdwa v115, v125, v115 dst_sel:DWORD dst_unused:UNUSED_PAD src0_sel:DWORD src1_sel:BYTE_1
	v_add_nc_u16 v115, 0xf800, v115
	v_lshrrev_b32_e32 v114, 8, v115
	v_cvt_f16_i16_sdwa v115, sext(v115) dst_sel:DWORD dst_unused:UNUSED_PAD src0_sel:BYTE_0
	v_cvt_f16_i16_sdwa v114, sext(v114) dst_sel:DWORD dst_unused:UNUSED_PAD src0_sel:BYTE_0
	v_pack_b32_f16 v114, v115, v114
	v_lshrrev_b32_e32 v115, 8, v116
	v_cvt_f16_i16_sdwa v116, sext(v116) dst_sel:DWORD dst_unused:UNUSED_PAD src0_sel:BYTE_0
	v_pk_mul_f16 v114, v114, v113
	v_cvt_f16_i16_sdwa v115, sext(v115) dst_sel:DWORD dst_unused:UNUSED_PAD src0_sel:BYTE_0
	v_pk_fma_f16 v118, v114, v124, v118
	v_pack_b32_f16 v115, v116, v115
	v_pk_mul_f16 v113, v115, v113
	v_pk_fma_f16 v119, v113, v124, v119
	v_add_co_u32 v113, vcc_lo, v91, s24
	v_add_co_ci_u32_e64 v114, null, 0, v92, vcc_lo
	v_add_co_u32 v115, vcc_lo, v89, s24
	v_add_co_ci_u32_e64 v116, null, 0, v90, vcc_lo
	global_load_ushort v113, v[113:114], off
	global_load_dword v115, v[115:116], off
	s_waitcnt vmcnt(1)
	v_mul_u32_u24_e32 v113, 0x10001, v113
	s_waitcnt vmcnt(0)
	v_ashrrev_i32_e32 v115, v101, v115
	v_and_b32_e32 v115, 0xf0f0f0f, v115
	v_lshrrev_b32_e32 v116, 16, v115
	v_and_b32_e32 v124, 0xf00, v116
	v_lshlrev_b16 v116, 8, v116
	v_add_nc_u16 v116, 0xf800, v116
	v_or_b32_sdwa v116, v124, v116 dst_sel:DWORD dst_unused:UNUSED_PAD src0_sel:DWORD src1_sel:BYTE_1
	v_and_b32_e32 v124, 0xf00, v115
	v_lshlrev_b16 v115, 8, v115
	v_add_nc_u16 v116, 0xf800, v116
	v_add_nc_u16 v115, 0xf800, v115
	v_or_b32_sdwa v115, v124, v115 dst_sel:DWORD dst_unused:UNUSED_PAD src0_sel:DWORD src1_sel:BYTE_1
	v_add_nc_u16 v115, 0xf800, v115
	v_lshrrev_b32_e32 v114, 8, v115
	v_cvt_f16_i16_sdwa v115, sext(v115) dst_sel:DWORD dst_unused:UNUSED_PAD src0_sel:BYTE_0
	v_cvt_f16_i16_sdwa v114, sext(v114) dst_sel:DWORD dst_unused:UNUSED_PAD src0_sel:BYTE_0
	v_pack_b32_f16 v114, v115, v114
	v_lshrrev_b32_e32 v115, 8, v116
	v_cvt_f16_i16_sdwa v116, sext(v116) dst_sel:DWORD dst_unused:UNUSED_PAD src0_sel:BYTE_0
	v_pk_mul_f16 v114, v114, v113
	v_cvt_f16_i16_sdwa v115, sext(v115) dst_sel:DWORD dst_unused:UNUSED_PAD src0_sel:BYTE_0
	v_pk_fma_f16 v118, v114, v120, v118
	v_pack_b32_f16 v115, v116, v115
	v_pk_mul_f16 v113, v115, v113
	v_pk_fma_f16 v119, v113, v120, v119
	v_add_co_u32 v113, vcc_lo, v87, s24
	v_add_co_ci_u32_e64 v114, null, 0, v88, vcc_lo
	v_add_co_u32 v115, vcc_lo, v85, s24
	v_add_co_ci_u32_e64 v116, null, 0, v86, vcc_lo
	global_load_ushort v113, v[113:114], off
	v_mul_u32_u24_e32 v120, 0x10001, v121
	global_load_dword v115, v[115:116], off
	s_waitcnt vmcnt(1)
	v_mul_u32_u24_e32 v113, 0x10001, v113
	s_waitcnt vmcnt(0)
	v_ashrrev_i32_e32 v115, v101, v115
	v_and_b32_e32 v115, 0xf0f0f0f, v115
	v_lshrrev_b32_e32 v116, 16, v115
	v_and_b32_e32 v121, 0xf00, v116
	v_lshlrev_b16 v116, 8, v116
	v_add_nc_u16 v116, 0xf800, v116
	v_or_b32_sdwa v116, v121, v116 dst_sel:DWORD dst_unused:UNUSED_PAD src0_sel:DWORD src1_sel:BYTE_1
	v_and_b32_e32 v121, 0xf00, v115
	v_lshlrev_b16 v115, 8, v115
	v_add_nc_u16 v116, 0xf800, v116
	v_add_nc_u16 v115, 0xf800, v115
	v_or_b32_sdwa v115, v121, v115 dst_sel:DWORD dst_unused:UNUSED_PAD src0_sel:DWORD src1_sel:BYTE_1
	v_add_nc_u16 v115, 0xf800, v115
	v_lshrrev_b32_e32 v114, 8, v115
	v_cvt_f16_i16_sdwa v115, sext(v115) dst_sel:DWORD dst_unused:UNUSED_PAD src0_sel:BYTE_0
	v_cvt_f16_i16_sdwa v114, sext(v114) dst_sel:DWORD dst_unused:UNUSED_PAD src0_sel:BYTE_0
	v_pack_b32_f16 v114, v115, v114
	v_lshrrev_b32_e32 v115, 8, v116
	v_cvt_f16_i16_sdwa v116, sext(v116) dst_sel:DWORD dst_unused:UNUSED_PAD src0_sel:BYTE_0
	v_pk_mul_f16 v114, v114, v113
	v_cvt_f16_i16_sdwa v115, sext(v115) dst_sel:DWORD dst_unused:UNUSED_PAD src0_sel:BYTE_0
	v_pk_fma_f16 v118, v114, v120, v118
	v_pack_b32_f16 v115, v116, v115
	v_pk_mul_f16 v113, v115, v113
	v_pk_fma_f16 v119, v113, v120, v119
	v_add_co_u32 v113, vcc_lo, v83, s24
	v_add_co_ci_u32_e64 v114, null, 0, v84, vcc_lo
	v_add_co_u32 v115, vcc_lo, v81, s24
	v_add_co_ci_u32_e64 v116, null, 0, v82, vcc_lo
	global_load_ushort v113, v[113:114], off
	global_load_dword v115, v[115:116], off
	s_waitcnt vmcnt(1)
	v_mul_u32_u24_e32 v113, 0x10001, v113
	s_waitcnt vmcnt(0)
	v_ashrrev_i32_e32 v115, v101, v115
	v_and_b32_e32 v115, 0xf0f0f0f, v115
	v_lshrrev_b32_e32 v116, 16, v115
	v_and_b32_e32 v120, 0xf00, v116
	v_lshlrev_b16 v116, 8, v116
	v_add_nc_u16 v116, 0xf800, v116
	v_or_b32_sdwa v116, v120, v116 dst_sel:DWORD dst_unused:UNUSED_PAD src0_sel:DWORD src1_sel:BYTE_1
	v_and_b32_e32 v120, 0xf00, v115
	v_lshlrev_b16 v115, 8, v115
	v_add_nc_u16 v116, 0xf800, v116
	v_add_nc_u16 v115, 0xf800, v115
	v_or_b32_sdwa v115, v120, v115 dst_sel:DWORD dst_unused:UNUSED_PAD src0_sel:DWORD src1_sel:BYTE_1
	v_add_nc_u16 v115, 0xf800, v115
	v_lshrrev_b32_e32 v114, 8, v115
	v_cvt_f16_i16_sdwa v115, sext(v115) dst_sel:DWORD dst_unused:UNUSED_PAD src0_sel:BYTE_0
	v_cvt_f16_i16_sdwa v114, sext(v114) dst_sel:DWORD dst_unused:UNUSED_PAD src0_sel:BYTE_0
	v_pack_b32_f16 v114, v115, v114
	v_lshrrev_b32_e32 v115, 8, v116
	v_cvt_f16_i16_sdwa v116, sext(v116) dst_sel:DWORD dst_unused:UNUSED_PAD src0_sel:BYTE_0
	v_pk_mul_f16 v114, v114, v113
	v_cvt_f16_i16_sdwa v115, sext(v115) dst_sel:DWORD dst_unused:UNUSED_PAD src0_sel:BYTE_0
	v_pk_fma_f16 v118, v114, v117, v118
	v_pack_b32_f16 v115, v116, v115
	v_pk_mul_f16 v113, v115, v113
	v_pk_fma_f16 v117, v113, v117, v119
	v_add_co_u32 v113, vcc_lo, v79, s24
	v_add_co_ci_u32_e64 v114, null, 0, v80, vcc_lo
	v_add_co_u32 v115, vcc_lo, v77, s24
	v_add_co_ci_u32_e64 v116, null, 0, v78, vcc_lo
	global_load_ushort v113, v[113:114], off
	v_mul_u32_u24_e32 v119, 0x10001, v122
	global_load_dword v115, v[115:116], off
	s_waitcnt vmcnt(1)
	v_mul_u32_u24_e32 v113, 0x10001, v113
	s_waitcnt vmcnt(0)
	v_ashrrev_i32_e32 v115, v101, v115
	v_and_b32_e32 v115, 0xf0f0f0f, v115
	v_lshrrev_b32_e32 v116, 16, v115
	v_and_b32_e32 v120, 0xf00, v116
	v_lshlrev_b16 v116, 8, v116
	v_add_nc_u16 v116, 0xf800, v116
	v_or_b32_sdwa v116, v120, v116 dst_sel:DWORD dst_unused:UNUSED_PAD src0_sel:DWORD src1_sel:BYTE_1
	v_and_b32_e32 v120, 0xf00, v115
	v_lshlrev_b16 v115, 8, v115
	v_add_nc_u16 v116, 0xf800, v116
	v_add_nc_u16 v115, 0xf800, v115
	v_or_b32_sdwa v115, v120, v115 dst_sel:DWORD dst_unused:UNUSED_PAD src0_sel:DWORD src1_sel:BYTE_1
	v_add_nc_u16 v115, 0xf800, v115
	v_lshrrev_b32_e32 v114, 8, v115
	v_cvt_f16_i16_sdwa v115, sext(v115) dst_sel:DWORD dst_unused:UNUSED_PAD src0_sel:BYTE_0
	v_cvt_f16_i16_sdwa v114, sext(v114) dst_sel:DWORD dst_unused:UNUSED_PAD src0_sel:BYTE_0
	v_pack_b32_f16 v114, v115, v114
	v_lshrrev_b32_e32 v115, 8, v116
	v_cvt_f16_i16_sdwa v116, sext(v116) dst_sel:DWORD dst_unused:UNUSED_PAD src0_sel:BYTE_0
	v_pk_mul_f16 v114, v114, v113
	v_cvt_f16_i16_sdwa v115, sext(v115) dst_sel:DWORD dst_unused:UNUSED_PAD src0_sel:BYTE_0
	v_pk_fma_f16 v118, v114, v119, v118
	v_pack_b32_f16 v115, v116, v115
	v_pk_mul_f16 v113, v115, v113
	v_pk_fma_f16 v117, v113, v119, v117
	v_add_co_u32 v113, vcc_lo, v75, s24
	v_add_co_ci_u32_e64 v114, null, 0, v76, vcc_lo
	v_add_co_u32 v115, vcc_lo, v73, s24
	v_add_co_ci_u32_e64 v116, null, 0, v74, vcc_lo
	global_load_ushort v113, v[113:114], off
	v_mul_u32_u24_e32 v119, 0x10001, v123
	global_load_dword v115, v[115:116], off
	s_waitcnt vmcnt(1)
	v_mul_u32_u24_e32 v113, 0x10001, v113
	s_waitcnt vmcnt(0)
	v_ashrrev_i32_e32 v115, v101, v115
	v_and_b32_e32 v115, 0xf0f0f0f, v115
	v_lshrrev_b32_e32 v116, 16, v115
	v_and_b32_e32 v120, 0xf00, v116
	v_lshlrev_b16 v116, 8, v116
	v_add_nc_u16 v116, 0xf800, v116
	v_or_b32_sdwa v116, v120, v116 dst_sel:DWORD dst_unused:UNUSED_PAD src0_sel:DWORD src1_sel:BYTE_1
	v_and_b32_e32 v120, 0xf00, v115
	v_lshlrev_b16 v115, 8, v115
	v_add_nc_u16 v116, 0xf800, v116
	v_add_nc_u16 v115, 0xf800, v115
	v_or_b32_sdwa v115, v120, v115 dst_sel:DWORD dst_unused:UNUSED_PAD src0_sel:DWORD src1_sel:BYTE_1
	v_add_nc_u16 v115, 0xf800, v115
	v_lshrrev_b32_e32 v114, 8, v115
	v_cvt_f16_i16_sdwa v115, sext(v115) dst_sel:DWORD dst_unused:UNUSED_PAD src0_sel:BYTE_0
	v_cvt_f16_i16_sdwa v114, sext(v114) dst_sel:DWORD dst_unused:UNUSED_PAD src0_sel:BYTE_0
	v_pack_b32_f16 v114, v115, v114
	v_lshrrev_b32_e32 v115, 8, v116
	v_cvt_f16_i16_sdwa v116, sext(v116) dst_sel:DWORD dst_unused:UNUSED_PAD src0_sel:BYTE_0
	v_pk_mul_f16 v114, v114, v113
	v_cvt_f16_i16_sdwa v115, sext(v115) dst_sel:DWORD dst_unused:UNUSED_PAD src0_sel:BYTE_0
	v_pack_b32_f16 v115, v116, v115
	v_pk_fma_f16 v116, v114, v119, v118
	v_mul_u32_u24_e32 v118, 0x10001, v112
	v_add_co_u32 v112, vcc_lo, v71, s24
	v_pk_mul_f16 v113, v115, v113
	v_pk_fma_f16 v117, v113, v119, v117
	v_add_co_ci_u32_e64 v113, null, 0, v72, vcc_lo
	v_add_co_u32 v114, vcc_lo, v69, s24
	v_add_co_ci_u32_e64 v115, null, 0, v70, vcc_lo
	global_load_ushort v112, v[112:113], off
	global_load_dword v114, v[114:115], off
	s_waitcnt vmcnt(1)
	v_mul_u32_u24_e32 v112, 0x10001, v112
	s_waitcnt vmcnt(0)
	v_ashrrev_i32_e32 v114, v101, v114
	v_and_b32_e32 v114, 0xf0f0f0f, v114
	v_lshrrev_b32_e32 v115, 16, v114
	v_and_b32_e32 v119, 0xf00, v115
	v_lshlrev_b16 v115, 8, v115
	v_add_nc_u16 v115, 0xf800, v115
	v_or_b32_sdwa v115, v119, v115 dst_sel:DWORD dst_unused:UNUSED_PAD src0_sel:DWORD src1_sel:BYTE_1
	v_and_b32_e32 v119, 0xf00, v114
	v_lshlrev_b16 v114, 8, v114
	v_add_nc_u16 v115, 0xf800, v115
	v_add_nc_u16 v114, 0xf800, v114
	v_or_b32_sdwa v114, v119, v114 dst_sel:DWORD dst_unused:UNUSED_PAD src0_sel:DWORD src1_sel:BYTE_1
	v_add_nc_u16 v114, 0xf800, v114
	v_lshrrev_b32_e32 v113, 8, v114
	v_cvt_f16_i16_sdwa v114, sext(v114) dst_sel:DWORD dst_unused:UNUSED_PAD src0_sel:BYTE_0
	v_cvt_f16_i16_sdwa v113, sext(v113) dst_sel:DWORD dst_unused:UNUSED_PAD src0_sel:BYTE_0
	v_pack_b32_f16 v113, v114, v113
	v_lshrrev_b32_e32 v114, 8, v115
	v_cvt_f16_i16_sdwa v115, sext(v115) dst_sel:DWORD dst_unused:UNUSED_PAD src0_sel:BYTE_0
	v_pk_mul_f16 v113, v113, v112
	v_cvt_f16_i16_sdwa v114, sext(v114) dst_sel:DWORD dst_unused:UNUSED_PAD src0_sel:BYTE_0
	v_pk_fma_f16 v116, v113, v118, v116
	v_pack_b32_f16 v114, v115, v114
	v_pk_mul_f16 v112, v114, v112
	v_pk_fma_f16 v117, v112, v118, v117
	v_add_co_u32 v112, vcc_lo, v67, s24
	v_add_co_ci_u32_e64 v113, null, 0, v68, vcc_lo
	v_add_co_u32 v114, vcc_lo, v65, s24
	v_add_co_ci_u32_e64 v115, null, 0, v66, vcc_lo
	global_load_ushort v112, v[112:113], off
	global_load_dword v114, v[114:115], off
	s_waitcnt vmcnt(1)
	v_mul_u32_u24_e32 v112, 0x10001, v112
	s_waitcnt vmcnt(0)
	v_ashrrev_i32_e32 v114, v101, v114
	v_and_b32_e32 v114, 0xf0f0f0f, v114
	v_lshrrev_b32_e32 v115, 16, v114
	v_and_b32_e32 v118, 0xf00, v115
	v_lshlrev_b16 v115, 8, v115
	v_add_nc_u16 v115, 0xf800, v115
	v_or_b32_sdwa v115, v118, v115 dst_sel:DWORD dst_unused:UNUSED_PAD src0_sel:DWORD src1_sel:BYTE_1
	v_and_b32_e32 v118, 0xf00, v114
	v_lshlrev_b16 v114, 8, v114
	v_add_nc_u16 v115, 0xf800, v115
	v_add_nc_u16 v114, 0xf800, v114
	v_or_b32_sdwa v114, v118, v114 dst_sel:DWORD dst_unused:UNUSED_PAD src0_sel:DWORD src1_sel:BYTE_1
	v_add_nc_u16 v114, 0xf800, v114
	v_lshrrev_b32_e32 v113, 8, v114
	v_cvt_f16_i16_sdwa v114, sext(v114) dst_sel:DWORD dst_unused:UNUSED_PAD src0_sel:BYTE_0
	v_cvt_f16_i16_sdwa v113, sext(v113) dst_sel:DWORD dst_unused:UNUSED_PAD src0_sel:BYTE_0
	v_pack_b32_f16 v113, v114, v113
	v_lshrrev_b32_e32 v114, 8, v115
	v_cvt_f16_i16_sdwa v115, sext(v115) dst_sel:DWORD dst_unused:UNUSED_PAD src0_sel:BYTE_0
	v_pk_mul_f16 v113, v113, v112
	v_cvt_f16_i16_sdwa v114, sext(v114) dst_sel:DWORD dst_unused:UNUSED_PAD src0_sel:BYTE_0
	v_pack_b32_f16 v114, v115, v114
	v_pk_mul_f16 v112, v114, v112
	v_pk_fma_f16 v114, v113, v110, v116
	v_mul_u32_u24_e32 v116, 0x10001, v111
	v_pk_fma_f16 v115, v112, v110, v117
	v_add_co_u32 v110, vcc_lo, v63, s24
	v_add_co_ci_u32_e64 v111, null, 0, v64, vcc_lo
	v_add_co_u32 v112, vcc_lo, v61, s24
	v_add_co_ci_u32_e64 v113, null, 0, v62, vcc_lo
	global_load_ushort v110, v[110:111], off
	global_load_dword v112, v[112:113], off
	s_waitcnt vmcnt(1)
	v_mul_u32_u24_e32 v110, 0x10001, v110
	s_waitcnt vmcnt(0)
	v_ashrrev_i32_e32 v112, v101, v112
	v_and_b32_e32 v112, 0xf0f0f0f, v112
	v_lshrrev_b32_e32 v113, 16, v112
	v_and_b32_e32 v117, 0xf00, v113
	v_lshlrev_b16 v113, 8, v113
	v_add_nc_u16 v113, 0xf800, v113
	v_or_b32_sdwa v113, v117, v113 dst_sel:DWORD dst_unused:UNUSED_PAD src0_sel:DWORD src1_sel:BYTE_1
	v_and_b32_e32 v117, 0xf00, v112
	v_lshlrev_b16 v112, 8, v112
	v_add_nc_u16 v113, 0xf800, v113
	v_add_nc_u16 v112, 0xf800, v112
	v_or_b32_sdwa v112, v117, v112 dst_sel:DWORD dst_unused:UNUSED_PAD src0_sel:DWORD src1_sel:BYTE_1
	v_add_nc_u16 v112, 0xf800, v112
	v_lshrrev_b32_e32 v111, 8, v112
	v_cvt_f16_i16_sdwa v112, sext(v112) dst_sel:DWORD dst_unused:UNUSED_PAD src0_sel:BYTE_0
	v_cvt_f16_i16_sdwa v111, sext(v111) dst_sel:DWORD dst_unused:UNUSED_PAD src0_sel:BYTE_0
	v_pack_b32_f16 v111, v112, v111
	v_lshrrev_b32_e32 v112, 8, v113
	v_cvt_f16_i16_sdwa v113, sext(v113) dst_sel:DWORD dst_unused:UNUSED_PAD src0_sel:BYTE_0
	v_pk_mul_f16 v111, v111, v110
	v_cvt_f16_i16_sdwa v112, sext(v112) dst_sel:DWORD dst_unused:UNUSED_PAD src0_sel:BYTE_0
	v_pack_b32_f16 v112, v113, v112
	v_pk_fma_f16 v113, v111, v116, v114
	v_pk_mul_f16 v110, v112, v110
	v_pk_fma_f16 v114, v110, v116, v115
	v_mul_u32_u24_e32 v115, 0x10001, v109
	v_add_co_u32 v109, vcc_lo, v59, s24
	v_add_co_ci_u32_e64 v110, null, 0, v60, vcc_lo
	v_add_co_u32 v111, vcc_lo, v57, s24
	v_add_co_ci_u32_e64 v112, null, 0, v58, vcc_lo
	global_load_ushort v109, v[109:110], off
	global_load_dword v111, v[111:112], off
	s_waitcnt vmcnt(1)
	v_mul_u32_u24_e32 v109, 0x10001, v109
	s_waitcnt vmcnt(0)
	v_ashrrev_i32_e32 v111, v101, v111
	v_and_b32_e32 v111, 0xf0f0f0f, v111
	v_lshrrev_b32_e32 v112, 16, v111
	v_and_b32_e32 v116, 0xf00, v112
	v_lshlrev_b16 v112, 8, v112
	v_add_nc_u16 v112, 0xf800, v112
	v_or_b32_sdwa v112, v116, v112 dst_sel:DWORD dst_unused:UNUSED_PAD src0_sel:DWORD src1_sel:BYTE_1
	v_and_b32_e32 v116, 0xf00, v111
	v_lshlrev_b16 v111, 8, v111
	v_add_nc_u16 v112, 0xf800, v112
	v_add_nc_u16 v111, 0xf800, v111
	v_or_b32_sdwa v111, v116, v111 dst_sel:DWORD dst_unused:UNUSED_PAD src0_sel:DWORD src1_sel:BYTE_1
	v_add_nc_u16 v111, 0xf800, v111
	v_lshrrev_b32_e32 v110, 8, v111
	v_cvt_f16_i16_sdwa v111, sext(v111) dst_sel:DWORD dst_unused:UNUSED_PAD src0_sel:BYTE_0
	v_cvt_f16_i16_sdwa v110, sext(v110) dst_sel:DWORD dst_unused:UNUSED_PAD src0_sel:BYTE_0
	v_pack_b32_f16 v110, v111, v110
	v_lshrrev_b32_e32 v111, 8, v112
	v_cvt_f16_i16_sdwa v112, sext(v112) dst_sel:DWORD dst_unused:UNUSED_PAD src0_sel:BYTE_0
	v_pk_mul_f16 v110, v110, v109
	v_cvt_f16_i16_sdwa v111, sext(v111) dst_sel:DWORD dst_unused:UNUSED_PAD src0_sel:BYTE_0
	v_pack_b32_f16 v111, v112, v111
	v_pk_fma_f16 v112, v110, v115, v113
	v_pk_mul_f16 v109, v111, v109
	v_pk_fma_f16 v113, v109, v115, v114
	v_mul_u32_u24_e32 v114, 0x10001, v108
	v_add_co_u32 v108, vcc_lo, v55, s24
	v_add_co_ci_u32_e64 v109, null, 0, v56, vcc_lo
	v_add_co_u32 v110, vcc_lo, v53, s24
	v_add_co_ci_u32_e64 v111, null, 0, v54, vcc_lo
	global_load_ushort v108, v[108:109], off
	global_load_dword v110, v[110:111], off
	s_waitcnt vmcnt(1)
	v_mul_u32_u24_e32 v108, 0x10001, v108
	s_waitcnt vmcnt(0)
	v_ashrrev_i32_e32 v110, v101, v110
	v_and_b32_e32 v110, 0xf0f0f0f, v110
	v_lshrrev_b32_e32 v111, 16, v110
	v_and_b32_e32 v115, 0xf00, v111
	v_lshlrev_b16 v111, 8, v111
	v_add_nc_u16 v111, 0xf800, v111
	v_or_b32_sdwa v111, v115, v111 dst_sel:DWORD dst_unused:UNUSED_PAD src0_sel:DWORD src1_sel:BYTE_1
	v_and_b32_e32 v115, 0xf00, v110
	v_lshlrev_b16 v110, 8, v110
	v_add_nc_u16 v111, 0xf800, v111
	v_add_nc_u16 v110, 0xf800, v110
	v_or_b32_sdwa v110, v115, v110 dst_sel:DWORD dst_unused:UNUSED_PAD src0_sel:DWORD src1_sel:BYTE_1
	v_add_nc_u16 v110, 0xf800, v110
	v_lshrrev_b32_e32 v109, 8, v110
	v_cvt_f16_i16_sdwa v110, sext(v110) dst_sel:DWORD dst_unused:UNUSED_PAD src0_sel:BYTE_0
	v_cvt_f16_i16_sdwa v109, sext(v109) dst_sel:DWORD dst_unused:UNUSED_PAD src0_sel:BYTE_0
	v_pack_b32_f16 v109, v110, v109
	v_lshrrev_b32_e32 v110, 8, v111
	v_cvt_f16_i16_sdwa v111, sext(v111) dst_sel:DWORD dst_unused:UNUSED_PAD src0_sel:BYTE_0
	v_pk_mul_f16 v109, v109, v108
	v_cvt_f16_i16_sdwa v110, sext(v110) dst_sel:DWORD dst_unused:UNUSED_PAD src0_sel:BYTE_0
	v_pk_fma_f16 v112, v109, v114, v112
	v_pack_b32_f16 v110, v111, v110
	v_pk_mul_f16 v108, v110, v108
	v_pk_fma_f16 v113, v108, v114, v113
	v_add_co_u32 v108, vcc_lo, v51, s24
	v_add_co_ci_u32_e64 v109, null, 0, v52, vcc_lo
	v_add_co_u32 v110, vcc_lo, v49, s24
	v_add_co_ci_u32_e64 v111, null, 0, v50, vcc_lo
	global_load_ushort v108, v[108:109], off
	global_load_dword v110, v[110:111], off
	s_waitcnt vmcnt(1)
	v_mul_u32_u24_e32 v108, 0x10001, v108
	s_waitcnt vmcnt(0)
	v_ashrrev_i32_e32 v110, v101, v110
	v_and_b32_e32 v110, 0xf0f0f0f, v110
	v_lshrrev_b32_e32 v111, 16, v110
	v_and_b32_e32 v114, 0xf00, v111
	v_lshlrev_b16 v111, 8, v111
	v_add_nc_u16 v111, 0xf800, v111
	v_or_b32_sdwa v111, v114, v111 dst_sel:DWORD dst_unused:UNUSED_PAD src0_sel:DWORD src1_sel:BYTE_1
	v_and_b32_e32 v114, 0xf00, v110
	v_lshlrev_b16 v110, 8, v110
	v_add_nc_u16 v111, 0xf800, v111
	v_add_nc_u16 v110, 0xf800, v110
	v_or_b32_sdwa v110, v114, v110 dst_sel:DWORD dst_unused:UNUSED_PAD src0_sel:DWORD src1_sel:BYTE_1
	v_add_nc_u16 v110, 0xf800, v110
	v_lshrrev_b32_e32 v109, 8, v110
	v_cvt_f16_i16_sdwa v110, sext(v110) dst_sel:DWORD dst_unused:UNUSED_PAD src0_sel:BYTE_0
	v_cvt_f16_i16_sdwa v109, sext(v109) dst_sel:DWORD dst_unused:UNUSED_PAD src0_sel:BYTE_0
	v_pack_b32_f16 v109, v110, v109
	v_lshrrev_b32_e32 v110, 8, v111
	v_cvt_f16_i16_sdwa v111, sext(v111) dst_sel:DWORD dst_unused:UNUSED_PAD src0_sel:BYTE_0
	v_pk_mul_f16 v109, v109, v108
	v_cvt_f16_i16_sdwa v110, sext(v110) dst_sel:DWORD dst_unused:UNUSED_PAD src0_sel:BYTE_0
	v_pack_b32_f16 v110, v111, v110
	v_pk_mul_f16 v108, v110, v108
	v_pk_fma_f16 v110, v109, v106, v112
	v_mul_u32_u24_e32 v112, 0x10001, v107
	v_pk_fma_f16 v111, v108, v106, v113
	v_add_co_u32 v106, vcc_lo, v47, s24
	v_add_co_ci_u32_e64 v107, null, 0, v48, vcc_lo
	v_add_co_u32 v108, vcc_lo, v45, s24
	v_add_co_ci_u32_e64 v109, null, 0, v46, vcc_lo
	global_load_ushort v106, v[106:107], off
	global_load_dword v108, v[108:109], off
	s_waitcnt vmcnt(1)
	v_mul_u32_u24_e32 v106, 0x10001, v106
	s_waitcnt vmcnt(0)
	v_ashrrev_i32_e32 v108, v101, v108
	v_and_b32_e32 v108, 0xf0f0f0f, v108
	v_lshrrev_b32_e32 v109, 16, v108
	v_and_b32_e32 v113, 0xf00, v109
	v_lshlrev_b16 v109, 8, v109
	v_add_nc_u16 v109, 0xf800, v109
	v_or_b32_sdwa v109, v113, v109 dst_sel:DWORD dst_unused:UNUSED_PAD src0_sel:DWORD src1_sel:BYTE_1
	v_and_b32_e32 v113, 0xf00, v108
	v_lshlrev_b16 v108, 8, v108
	v_add_nc_u16 v109, 0xf800, v109
	v_add_nc_u16 v108, 0xf800, v108
	v_or_b32_sdwa v108, v113, v108 dst_sel:DWORD dst_unused:UNUSED_PAD src0_sel:DWORD src1_sel:BYTE_1
	v_add_nc_u16 v108, 0xf800, v108
	v_lshrrev_b32_e32 v107, 8, v108
	v_cvt_f16_i16_sdwa v108, sext(v108) dst_sel:DWORD dst_unused:UNUSED_PAD src0_sel:BYTE_0
	v_cvt_f16_i16_sdwa v107, sext(v107) dst_sel:DWORD dst_unused:UNUSED_PAD src0_sel:BYTE_0
	v_pack_b32_f16 v107, v108, v107
	v_lshrrev_b32_e32 v108, 8, v109
	v_cvt_f16_i16_sdwa v109, sext(v109) dst_sel:DWORD dst_unused:UNUSED_PAD src0_sel:BYTE_0
	v_pk_mul_f16 v107, v107, v106
	v_cvt_f16_i16_sdwa v108, sext(v108) dst_sel:DWORD dst_unused:UNUSED_PAD src0_sel:BYTE_0
	v_pack_b32_f16 v108, v109, v108
	v_pk_fma_f16 v109, v107, v112, v110
	v_pk_mul_f16 v106, v108, v106
	v_pk_fma_f16 v110, v106, v112, v111
	v_mul_u32_u24_e32 v111, 0x10001, v105
	v_add_co_u32 v105, vcc_lo, v43, s24
	v_add_co_ci_u32_e64 v106, null, 0, v44, vcc_lo
	v_add_co_u32 v107, vcc_lo, v41, s24
	v_add_co_ci_u32_e64 v108, null, 0, v42, vcc_lo
	global_load_ushort v105, v[105:106], off
	global_load_dword v107, v[107:108], off
	s_waitcnt vmcnt(1)
	v_mul_u32_u24_e32 v105, 0x10001, v105
	s_waitcnt vmcnt(0)
	v_ashrrev_i32_e32 v107, v101, v107
	v_and_b32_e32 v107, 0xf0f0f0f, v107
	v_lshrrev_b32_e32 v108, 16, v107
	v_and_b32_e32 v112, 0xf00, v108
	v_lshlrev_b16 v108, 8, v108
	v_add_nc_u16 v108, 0xf800, v108
	v_or_b32_sdwa v108, v112, v108 dst_sel:DWORD dst_unused:UNUSED_PAD src0_sel:DWORD src1_sel:BYTE_1
	v_and_b32_e32 v112, 0xf00, v107
	v_lshlrev_b16 v107, 8, v107
	v_add_nc_u16 v108, 0xf800, v108
	v_add_nc_u16 v107, 0xf800, v107
	v_or_b32_sdwa v107, v112, v107 dst_sel:DWORD dst_unused:UNUSED_PAD src0_sel:DWORD src1_sel:BYTE_1
	v_add_nc_u16 v107, 0xf800, v107
	v_lshrrev_b32_e32 v106, 8, v107
	v_cvt_f16_i16_sdwa v107, sext(v107) dst_sel:DWORD dst_unused:UNUSED_PAD src0_sel:BYTE_0
	v_cvt_f16_i16_sdwa v106, sext(v106) dst_sel:DWORD dst_unused:UNUSED_PAD src0_sel:BYTE_0
	v_pack_b32_f16 v106, v107, v106
	v_lshrrev_b32_e32 v107, 8, v108
	v_cvt_f16_i16_sdwa v108, sext(v108) dst_sel:DWORD dst_unused:UNUSED_PAD src0_sel:BYTE_0
	v_pk_mul_f16 v106, v106, v105
	v_cvt_f16_i16_sdwa v107, sext(v107) dst_sel:DWORD dst_unused:UNUSED_PAD src0_sel:BYTE_0
	v_pack_b32_f16 v107, v108, v107
	v_pk_mul_f16 v107, v107, v105
	v_pk_fma_f16 v105, v106, v111, v109
	v_add_co_u32 v109, vcc_lo, v39, s24
	v_pk_fma_f16 v106, v107, v111, v110
	v_add_co_ci_u32_e64 v110, null, 0, v40, vcc_lo
	v_add_co_u32 v107, vcc_lo, v37, s24
	v_add_co_ci_u32_e64 v108, null, 0, v38, vcc_lo
	global_load_ushort v109, v[109:110], off
	v_add_co_u32 v29, vcc_lo, v29, s9
	global_load_dword v107, v[107:108], off
	v_add_co_ci_u32_e64 v30, null, 0, v30, vcc_lo
	v_add_co_u32 v31, vcc_lo, v31, s9
	v_add_co_ci_u32_e64 v32, null, 0, v32, vcc_lo
	v_add_co_u32 v33, vcc_lo, v33, s9
	;; [unrolled: 2-line block ×36, first 2 shown]
	v_add_co_ci_u32_e64 v100, null, 0, v100, vcc_lo
	s_waitcnt vmcnt(1)
	v_mul_u32_u24_e32 v109, 0x10001, v109
	s_waitcnt vmcnt(0)
	v_ashrrev_i32_e32 v107, v101, v107
	v_and_b32_e32 v108, 0xf0f0f0f, v107
	v_lshrrev_b32_e32 v107, 16, v108
	v_and_b32_e32 v111, 0xf00, v107
	v_lshlrev_b16 v107, 8, v107
	v_add_nc_u16 v107, 0xf800, v107
	v_or_b32_sdwa v107, v111, v107 dst_sel:DWORD dst_unused:UNUSED_PAD src0_sel:DWORD src1_sel:BYTE_1
	v_and_b32_e32 v111, 0xf00, v108
	v_lshlrev_b16 v108, 8, v108
	v_add_nc_u16 v107, 0xf800, v107
	v_add_nc_u16 v108, 0xf800, v108
	v_or_b32_sdwa v108, v111, v108 dst_sel:DWORD dst_unused:UNUSED_PAD src0_sel:DWORD src1_sel:BYTE_1
	v_add_nc_u16 v108, 0xf800, v108
	v_lshrrev_b32_e32 v110, 8, v108
	v_cvt_f16_i16_sdwa v108, sext(v108) dst_sel:DWORD dst_unused:UNUSED_PAD src0_sel:BYTE_0
	v_cvt_f16_i16_sdwa v110, sext(v110) dst_sel:DWORD dst_unused:UNUSED_PAD src0_sel:BYTE_0
	v_pack_b32_f16 v108, v108, v110
	v_lshrrev_b32_e32 v110, 8, v107
	v_cvt_f16_i16_sdwa v107, sext(v107) dst_sel:DWORD dst_unused:UNUSED_PAD src0_sel:BYTE_0
	v_pk_mul_f16 v108, v108, v109
	v_cvt_f16_i16_sdwa v110, sext(v110) dst_sel:DWORD dst_unused:UNUSED_PAD src0_sel:BYTE_0
	v_pk_fma_f16 v105, v108, v104, v105
	v_pack_b32_f16 v107, v107, v110
	v_pk_mul_f16 v107, v107, v109
	v_pk_fma_f16 v104, v107, v104, v106
	s_cbranch_scc1 .LBB0_26
; %bb.24:                               ;   in Loop: Header=BB0_19 Depth=1
	v_mov_b32_e32 v106, v103
	s_branch .LBB0_19
.LBB0_25:
	v_mov_b32_e32 v105, 0
	v_mov_b32_e32 v103, 0xfeffffff
	;; [unrolled: 1-line block ×3, first 2 shown]
.LBB0_26:
	v_or_b32_e32 v2, s7, v1
	s_cmp_lg_u64 s[16:17], 0
	s_cselect_b32 s1, -1, 0
	v_cmp_eq_u32_e32 vcc_lo, 0, v2
	s_and_b32 s2, vcc_lo, s1
	s_and_saveexec_b32 s1, s2
	s_cbranch_execz .LBB0_28
; %bb.27:
	s_lshl_b64 s[2:3], s[30:31], 2
	v_max_f32_e32 v2, v103, v103
	s_add_u32 s2, s16, s2
	s_addc_u32 s3, s17, s3
	s_load_dword s2, s[2:3], 0x0
	s_waitcnt lgkmcnt(0)
	v_max_f32_e64 v3, s2, s2
	v_max_f32_e32 v2, v2, v3
	v_sub_f32_e32 v3, v103, v2
	v_sub_f32_e32 v4, s2, v2
	v_mov_b32_e32 v103, v2
	v_mul_f32_e32 v5, 0x3fb8aa3b, v3
	v_mul_f32_e32 v6, 0x3fb8aa3b, v4
	v_cmp_ngt_f32_e32 vcc_lo, 0xc2ce8ed0, v3
	v_fma_f32 v7, 0x3fb8aa3b, v3, -v5
	v_rndne_f32_e32 v8, v5
	v_fma_f32 v9, 0x3fb8aa3b, v4, -v6
	v_rndne_f32_e32 v10, v6
	v_fmac_f32_e32 v7, 0x32a5705f, v3
	v_sub_f32_e32 v5, v5, v8
	v_fmac_f32_e32 v9, 0x32a5705f, v4
	v_sub_f32_e32 v6, v6, v10
	v_add_f32_e32 v5, v5, v7
	v_cvt_i32_f32_e32 v7, v8
	v_add_f32_e32 v6, v6, v9
	v_cvt_i32_f32_e32 v8, v10
	v_exp_f32_e32 v5, v5
	v_exp_f32_e32 v6, v6
	v_ldexp_f32 v5, v5, v7
	v_ldexp_f32 v6, v6, v8
	v_cndmask_b32_e32 v5, 0, v5, vcc_lo
	v_cmp_ngt_f32_e32 vcc_lo, 0xc2ce8ed0, v4
	v_cndmask_b32_e32 v6, 0, v6, vcc_lo
	v_cmp_nlt_f32_e32 vcc_lo, 0x42b17218, v3
	v_cndmask_b32_e32 v3, 0x7f800000, v5, vcc_lo
	v_cmp_nlt_f32_e32 vcc_lo, 0x42b17218, v4
	v_mov_b32_e32 v5, 0x10001
	v_cndmask_b32_e32 v4, 0x7f800000, v6, vcc_lo
	v_cmp_eq_u32_e32 vcc_lo, 0, v0
	v_cvt_f16_f32_e32 v6, v3
	v_cndmask_b32_e32 v4, 0, v4, vcc_lo
	v_mul_u32_u24_sdwa v5, v6, v5 dst_sel:DWORD dst_unused:UNUSED_PAD src0_sel:WORD_0 src1_sel:DWORD
	v_fmac_f32_e32 v4, v21, v3
	v_pk_mul_f16 v105, v105, v5
	v_pk_mul_f16 v104, v104, v5
	v_mov_b32_e32 v21, v4
.LBB0_28:
	s_or_b32 exec_lo, exec_lo, s1
	s_and_saveexec_b32 s1, s0
	s_cbranch_execz .LBB0_30
; %bb.29:
	v_mov_b32_e32 v2, 0xfeffffff
	v_mov_b32_e32 v3, 0
	v_add_nc_u32_e32 v4, 0x400, v19
	ds_write2_b32 v4, v2, v3 offset1:32
.LBB0_30:
	s_or_b32 exec_lo, exec_lo, s1
	v_cmp_eq_u32_e32 vcc_lo, 0, v0
	v_lshlrev_b32_e32 v5, 2, v1
	s_waitcnt lgkmcnt(0)
	s_barrier
	buffer_gl0_inv
	s_and_saveexec_b32 s0, vcc_lo
; %bb.31:
	ds_write_b32 v5, v103 offset:1024
; %bb.32:
	s_or_b32 exec_lo, exec_lo, s0
	s_waitcnt lgkmcnt(0)
	s_barrier
	buffer_gl0_inv
	ds_read_b32 v2, v19 offset:1024
	v_xor_b32_e32 v3, 16, v20
	v_xor_b32_e32 v4, 8, v20
	v_lshlrev_b32_e32 v0, 3, v0
	v_mov_b32_e32 v13, 0x10001
	v_cmp_gt_i32_e64 s0, 32, v3
	v_cndmask_b32_e64 v3, v20, v3, s0
	v_cmp_gt_i32_e64 s0, 32, v4
	v_lshlrev_b32_e32 v7, 2, v3
	v_cndmask_b32_e64 v4, v20, v4, s0
	s_waitcnt lgkmcnt(0)
	ds_bpermute_b32 v3, v7, v2
	v_max_f32_e32 v2, v2, v2
	v_lshlrev_b32_e32 v8, 2, v4
	v_xor_b32_e32 v4, 4, v20
	v_cmp_gt_i32_e64 s0, 32, v4
	v_cndmask_b32_e64 v4, v20, v4, s0
	v_lshlrev_b32_e32 v9, 2, v4
	v_xor_b32_e32 v4, 2, v20
	s_waitcnt lgkmcnt(0)
	v_max_f32_e32 v3, v3, v3
	v_cmp_gt_i32_e64 s0, 32, v4
	v_max_f32_e32 v2, v2, v3
	v_cndmask_b32_e64 v4, v20, v4, s0
	ds_bpermute_b32 v3, v8, v2
	v_lshlrev_b32_e32 v6, 2, v4
	v_xor_b32_e32 v4, 1, v20
	v_cmp_gt_i32_e64 s0, 32, v4
	v_cndmask_b32_e64 v4, v20, v4, s0
	s_waitcnt lgkmcnt(0)
	v_max_f32_e32 v3, v3, v3
	v_lshlrev_b32_e32 v4, 2, v4
	v_max_f32_e32 v2, v2, v3
	ds_bpermute_b32 v3, v9, v2
	s_waitcnt lgkmcnt(0)
	v_max_f32_e32 v3, v3, v3
	v_max_f32_e32 v2, v2, v3
	ds_bpermute_b32 v3, v6, v2
	s_waitcnt lgkmcnt(0)
	v_max_f32_e32 v3, v3, v3
	v_max_f32_e32 v2, v2, v3
	ds_bpermute_b32 v3, v4, v2
	s_waitcnt lgkmcnt(0)
	v_max_f32_e32 v3, v3, v3
	v_max_f32_e32 v2, v2, v3
	v_sub_f32_e32 v3, v103, v2
	v_mul_f32_e32 v10, 0x3fb8aa3b, v3
	v_cmp_ngt_f32_e64 s0, 0xc2ce8ed0, v3
	v_fma_f32 v11, 0x3fb8aa3b, v3, -v10
	v_rndne_f32_e32 v12, v10
	v_fmamk_f32 v11, v3, 0x32a5705f, v11
	v_sub_f32_e32 v10, v10, v12
	v_add_f32_e32 v10, v10, v11
	v_cvt_i32_f32_e32 v11, v12
	v_and_b32_e32 v12, 0x380, v0
	v_exp_f32_e32 v10, v10
	v_lshl_add_u32 v1, v1, 8, v12
	v_and_or_b32 v12, 0x78, v0, v1
	v_ldexp_f32 v10, v10, v11
	v_cndmask_b32_e64 v10, 0, v10, s0
	v_cmp_nlt_f32_e64 s0, 0x42b17218, v3
	v_cndmask_b32_e64 v3, 0x7f800000, v10, s0
	v_mul_f32_e32 v10, v21, v3
	ds_bpermute_b32 v10, v7, v10
	s_waitcnt lgkmcnt(0)
	v_fmac_f32_e32 v10, v21, v3
	v_cvt_f16_f32_e32 v3, v3
	ds_bpermute_b32 v11, v8, v10
	v_mul_u32_u24_sdwa v3, v3, v13 dst_sel:DWORD dst_unused:UNUSED_PAD src0_sel:WORD_0 src1_sel:DWORD
	v_pk_mul_f16 v0, v105, v3
	v_pk_mul_f16 v1, v104, v3
	ds_write_b64 v12, v[0:1]
	s_waitcnt lgkmcnt(1)
	v_add_f32_e32 v10, v10, v11
	ds_bpermute_b32 v11, v9, v10
	s_waitcnt lgkmcnt(0)
	v_add_f32_e32 v10, v10, v11
	ds_bpermute_b32 v11, v6, v10
	;; [unrolled: 3-line block ×3, first 2 shown]
	s_waitcnt lgkmcnt(0)
	v_add_f32_e32 v3, v10, v11
	s_and_saveexec_b32 s0, vcc_lo
; %bb.33:
	ds_write_b32 v5, v3 offset:1152
; %bb.34:
	s_or_b32 exec_lo, exec_lo, s0
	s_waitcnt lgkmcnt(0)
	s_barrier
	buffer_gl0_inv
	s_load_dword s1, s[4:5], 0xd4
	s_mul_i32 s0, s33, s28
	s_mov_b32 s2, exec_lo
	s_add_i32 s0, s0, s6
	s_mul_i32 s0, s0, s29
	s_add_i32 s0, s0, s30
	s_waitcnt lgkmcnt(0)
	s_mul_i32 s0, s1, s0
	v_cmpx_gt_u32_e32 64, v17
	s_cbranch_execz .LBB0_36
; %bb.35:
	ds_read_b32 v0, v19 offset:1152
	s_add_i32 s3, s0, s7
	s_cmp_eq_u32 s1, 1
	s_waitcnt lgkmcnt(0)
	ds_bpermute_b32 v1, v7, v0
	ds_read_u16 v3, v18
	ds_read_u16 v5, v18 offset:128
	ds_read_u16 v7, v18 offset:256
	s_waitcnt lgkmcnt(2)
	v_cvt_f32_f16_e32 v3, v3
	v_add_f32_e32 v0, v0, v1
	s_waitcnt lgkmcnt(1)
	v_cvt_f32_f16_e32 v5, v5
	s_waitcnt lgkmcnt(0)
	v_cvt_f32_f16_e32 v7, v7
	v_add_f32_e32 v3, 0, v3
	ds_bpermute_b32 v1, v8, v0
	v_add_f32_e32 v3, v3, v5
	v_add_f32_e32 v3, v3, v7
	s_waitcnt lgkmcnt(0)
	v_add_f32_e32 v0, v0, v1
	ds_bpermute_b32 v1, v9, v0
	s_waitcnt lgkmcnt(0)
	v_add_f32_e32 v0, v0, v1
	ds_read_u16 v1, v18 offset:384
	ds_read_u16 v8, v18 offset:512
	;; [unrolled: 1-line block ×5, first 2 shown]
	ds_bpermute_b32 v6, v6, v0
	s_waitcnt lgkmcnt(4)
	v_cvt_f32_f16_e32 v5, v8
	v_cvt_f32_f16_e32 v1, v1
	s_waitcnt lgkmcnt(0)
	v_add_f32_e32 v0, v0, v6
	v_add_f32_e32 v1, v3, v1
	ds_bpermute_b32 v3, v4, v0
	v_cvt_f32_f16_e32 v4, v9
	v_add_f32_e32 v1, v1, v5
	v_cvt_f32_f16_e32 v5, v10
	v_add_f32_e32 v1, v1, v4
	;; [unrolled: 2-line block ×3, first 2 shown]
	v_add_f32_e32 v4, v1, v4
	s_waitcnt lgkmcnt(0)
	v_add_f32_e32 v3, v0, v3
	v_div_scale_f32 v0, null, v3, v3, v4
	v_div_scale_f32 v6, vcc_lo, v4, v3, v4
	v_rcp_f32_e32 v5, v0
	v_fma_f32 v1, -v0, v5, 1.0
	v_fmac_f32_e32 v5, v1, v5
	v_mul_f32_e32 v7, v6, v5
	v_fma_f32 v1, -v0, v7, v6
	v_fmac_f32_e32 v7, v1, v5
	v_mov_b32_e32 v1, 0
	v_fma_f32 v6, -v0, v7, v6
	v_lshl_or_b32 v0, s3, 6, v17
	v_div_fmas_f32 v5, v6, v5, v7
	v_lshlrev_b64 v[0:1], 2, v[0:1]
	v_div_fixup_f32 v5, v5, v3, v4
	v_add_co_u32 v0, vcc_lo, s20, v0
	v_add_co_ci_u32_e64 v1, null, s21, v1, vcc_lo
	s_cselect_b32 vcc_lo, -1, 0
	v_cndmask_b32_e32 v4, v4, v5, vcc_lo
	global_store_dword v[0:1], v4, off
.LBB0_36:
	s_or_b32 exec_lo, exec_lo, s2
	v_cmp_eq_u32_e32 vcc_lo, 0, v17
	s_cmp_lg_u32 s1, 1
	s_mov_b32 s1, 0
	s_cselect_b32 s2, -1, 0
	s_and_b32 s2, vcc_lo, s2
	s_and_saveexec_b32 s3, s2
	s_cbranch_execz .LBB0_38
; %bb.37:
	s_add_i32 s0, s0, s7
	v_mov_b32_e32 v0, 0
	s_lshl_b64 s[0:1], s[0:1], 3
	s_add_u32 s0, s22, s0
	s_addc_u32 s1, s23, s1
	global_store_dwordx2 v0, v[2:3], s[0:1]
.LBB0_38:
	s_endpgm
	.section	.rodata,"a",@progbits
	.p2align	6, 0x0
	.amdhsa_kernel _ZL18flash_attn_ext_vecILi64ELi1EL9ggml_type2ELS0_2ELb0EEvPKcS2_S2_S2_S2_PKiPfP15HIP_vector_typeIfLj2EEffffjfiS6_IjLj3EEiiiiiiiiiiiliiliiiiil
		.amdhsa_group_segment_fixed_size 1280
		.amdhsa_private_segment_fixed_size 0
		.amdhsa_kernarg_size 464
		.amdhsa_user_sgpr_count 6
		.amdhsa_user_sgpr_private_segment_buffer 1
		.amdhsa_user_sgpr_dispatch_ptr 0
		.amdhsa_user_sgpr_queue_ptr 0
		.amdhsa_user_sgpr_kernarg_segment_ptr 1
		.amdhsa_user_sgpr_dispatch_id 0
		.amdhsa_user_sgpr_flat_scratch_init 0
		.amdhsa_user_sgpr_private_segment_size 0
		.amdhsa_wavefront_size32 1
		.amdhsa_uses_dynamic_stack 0
		.amdhsa_system_sgpr_private_segment_wavefront_offset 0
		.amdhsa_system_sgpr_workgroup_id_x 1
		.amdhsa_system_sgpr_workgroup_id_y 1
		.amdhsa_system_sgpr_workgroup_id_z 1
		.amdhsa_system_sgpr_workgroup_info 0
		.amdhsa_system_vgpr_workitem_id 1
		.amdhsa_next_free_vgpr 126
		.amdhsa_next_free_sgpr 50
		.amdhsa_reserve_vcc 1
		.amdhsa_reserve_flat_scratch 0
		.amdhsa_float_round_mode_32 0
		.amdhsa_float_round_mode_16_64 0
		.amdhsa_float_denorm_mode_32 3
		.amdhsa_float_denorm_mode_16_64 3
		.amdhsa_dx10_clamp 1
		.amdhsa_ieee_mode 1
		.amdhsa_fp16_overflow 0
		.amdhsa_workgroup_processor_mode 1
		.amdhsa_memory_ordered 1
		.amdhsa_forward_progress 1
		.amdhsa_shared_vgpr_count 0
		.amdhsa_exception_fp_ieee_invalid_op 0
		.amdhsa_exception_fp_denorm_src 0
		.amdhsa_exception_fp_ieee_div_zero 0
		.amdhsa_exception_fp_ieee_overflow 0
		.amdhsa_exception_fp_ieee_underflow 0
		.amdhsa_exception_fp_ieee_inexact 0
		.amdhsa_exception_int_div_zero 0
	.end_amdhsa_kernel
	.section	.text._ZL18flash_attn_ext_vecILi64ELi1EL9ggml_type2ELS0_2ELb0EEvPKcS2_S2_S2_S2_PKiPfP15HIP_vector_typeIfLj2EEffffjfiS6_IjLj3EEiiiiiiiiiiiliiliiiiil,"axG",@progbits,_ZL18flash_attn_ext_vecILi64ELi1EL9ggml_type2ELS0_2ELb0EEvPKcS2_S2_S2_S2_PKiPfP15HIP_vector_typeIfLj2EEffffjfiS6_IjLj3EEiiiiiiiiiiiliiliiiiil,comdat
.Lfunc_end0:
	.size	_ZL18flash_attn_ext_vecILi64ELi1EL9ggml_type2ELS0_2ELb0EEvPKcS2_S2_S2_S2_PKiPfP15HIP_vector_typeIfLj2EEffffjfiS6_IjLj3EEiiiiiiiiiiiliiliiiiil, .Lfunc_end0-_ZL18flash_attn_ext_vecILi64ELi1EL9ggml_type2ELS0_2ELb0EEvPKcS2_S2_S2_S2_PKiPfP15HIP_vector_typeIfLj2EEffffjfiS6_IjLj3EEiiiiiiiiiiiliiliiiiil
                                        ; -- End function
	.set _ZL18flash_attn_ext_vecILi64ELi1EL9ggml_type2ELS0_2ELb0EEvPKcS2_S2_S2_S2_PKiPfP15HIP_vector_typeIfLj2EEffffjfiS6_IjLj3EEiiiiiiiiiiiliiliiiiil.num_vgpr, 126
	.set _ZL18flash_attn_ext_vecILi64ELi1EL9ggml_type2ELS0_2ELb0EEvPKcS2_S2_S2_S2_PKiPfP15HIP_vector_typeIfLj2EEffffjfiS6_IjLj3EEiiiiiiiiiiiliiliiiiil.num_agpr, 0
	.set _ZL18flash_attn_ext_vecILi64ELi1EL9ggml_type2ELS0_2ELb0EEvPKcS2_S2_S2_S2_PKiPfP15HIP_vector_typeIfLj2EEffffjfiS6_IjLj3EEiiiiiiiiiiiliiliiiiil.numbered_sgpr, 50
	.set _ZL18flash_attn_ext_vecILi64ELi1EL9ggml_type2ELS0_2ELb0EEvPKcS2_S2_S2_S2_PKiPfP15HIP_vector_typeIfLj2EEffffjfiS6_IjLj3EEiiiiiiiiiiiliiliiiiil.num_named_barrier, 0
	.set _ZL18flash_attn_ext_vecILi64ELi1EL9ggml_type2ELS0_2ELb0EEvPKcS2_S2_S2_S2_PKiPfP15HIP_vector_typeIfLj2EEffffjfiS6_IjLj3EEiiiiiiiiiiiliiliiiiil.private_seg_size, 0
	.set _ZL18flash_attn_ext_vecILi64ELi1EL9ggml_type2ELS0_2ELb0EEvPKcS2_S2_S2_S2_PKiPfP15HIP_vector_typeIfLj2EEffffjfiS6_IjLj3EEiiiiiiiiiiiliiliiiiil.uses_vcc, 1
	.set _ZL18flash_attn_ext_vecILi64ELi1EL9ggml_type2ELS0_2ELb0EEvPKcS2_S2_S2_S2_PKiPfP15HIP_vector_typeIfLj2EEffffjfiS6_IjLj3EEiiiiiiiiiiiliiliiiiil.uses_flat_scratch, 0
	.set _ZL18flash_attn_ext_vecILi64ELi1EL9ggml_type2ELS0_2ELb0EEvPKcS2_S2_S2_S2_PKiPfP15HIP_vector_typeIfLj2EEffffjfiS6_IjLj3EEiiiiiiiiiiiliiliiiiil.has_dyn_sized_stack, 0
	.set _ZL18flash_attn_ext_vecILi64ELi1EL9ggml_type2ELS0_2ELb0EEvPKcS2_S2_S2_S2_PKiPfP15HIP_vector_typeIfLj2EEffffjfiS6_IjLj3EEiiiiiiiiiiiliiliiiiil.has_recursion, 0
	.set _ZL18flash_attn_ext_vecILi64ELi1EL9ggml_type2ELS0_2ELb0EEvPKcS2_S2_S2_S2_PKiPfP15HIP_vector_typeIfLj2EEffffjfiS6_IjLj3EEiiiiiiiiiiiliiliiiiil.has_indirect_call, 0
	.section	.AMDGPU.csdata,"",@progbits
; Kernel info:
; codeLenInByte = 12676
; TotalNumSgprs: 52
; NumVgprs: 126
; ScratchSize: 0
; MemoryBound: 0
; FloatMode: 240
; IeeeMode: 1
; LDSByteSize: 1280 bytes/workgroup (compile time only)
; SGPRBlocks: 0
; VGPRBlocks: 15
; NumSGPRsForWavesPerEU: 52
; NumVGPRsForWavesPerEU: 126
; Occupancy: 8
; WaveLimiterHint : 0
; COMPUTE_PGM_RSRC2:SCRATCH_EN: 0
; COMPUTE_PGM_RSRC2:USER_SGPR: 6
; COMPUTE_PGM_RSRC2:TRAP_HANDLER: 0
; COMPUTE_PGM_RSRC2:TGID_X_EN: 1
; COMPUTE_PGM_RSRC2:TGID_Y_EN: 1
; COMPUTE_PGM_RSRC2:TGID_Z_EN: 1
; COMPUTE_PGM_RSRC2:TIDIG_COMP_CNT: 1
	.section	.text._ZL25flash_attn_mask_to_KV_maxILi1EEvPK7__half2Piiii,"axG",@progbits,_ZL25flash_attn_mask_to_KV_maxILi1EEvPK7__half2Piiii,comdat
	.globl	_ZL25flash_attn_mask_to_KV_maxILi1EEvPK7__half2Piiii ; -- Begin function _ZL25flash_attn_mask_to_KV_maxILi1EEvPK7__half2Piiii
	.p2align	8
	.type	_ZL25flash_attn_mask_to_KV_maxILi1EEvPK7__half2Piiii,@function
_ZL25flash_attn_mask_to_KV_maxILi1EEvPK7__half2Piiii: ; @_ZL25flash_attn_mask_to_KV_maxILi1EEvPK7__half2Piiii
; %bb.0:
	s_load_dwordx4 s[8:11], s[4:5], 0x0
	s_mov_b32 s0, exec_lo
	v_cmpx_gt_u32_e32 32, v0
; %bb.1:
	v_lshlrev_b32_e32 v1, 2, v0
	v_mov_b32_e32 v2, 1
	ds_write_b32 v1, v2
; %bb.2:
	s_or_b32 exec_lo, exec_lo, s0
	s_clause 0x1
	s_load_dwordx4 s[12:15], s[4:5], 0x10
	s_load_dword s1, s[4:5], 0x20
	v_and_b32_e32 v1, 31, v0
	v_lshrrev_b32_e32 v3, 3, v0
	v_mov_b32_e32 v2, 0
	v_mov_b32_e32 v4, 0x204
	s_waitcnt lgkmcnt(0)
	v_lshlrev_b32_e32 v5, 2, v1
	s_barrier
	buffer_gl0_inv
	s_mul_i32 s0, s14, s7
	s_mul_i32 s2, s13, s6
	s_add_i32 s2, s0, s2
	v_cmp_eq_u32_e64 s0, 0, v1
	s_ashr_i32 s3, s2, 31
	s_lshl_b64 s[4:5], s[2:3], 2
	s_add_u32 s3, s8, s4
	s_addc_u32 s4, s9, s5
	s_lshl_b32 s5, s12, 8
	s_branch .LBB1_4
	.p2align	6
.LBB1_3:                                ;   in Loop: Header=BB1_4 Depth=1
	s_or_b32 exec_lo, exec_lo, s9
	s_waitcnt lgkmcnt(0)
	s_barrier
	buffer_gl0_inv
	ds_read_b32 v1, v5
	s_waitcnt lgkmcnt(0)
	s_barrier
	buffer_gl0_inv
	v_cmp_ne_u32_e32 vcc_lo, 0, v1
	s_cmp_lg_u32 vcc_lo, exec_lo
	s_cselect_b32 s8, -1, 0
	s_and_b32 vcc_lo, exec_lo, s8
	s_cbranch_vccnz .LBB1_8
.LBB1_4:                                ; =>This Inner Loop Header: Depth=1
	s_mov_b32 s2, s5
	s_addk_i32 s5, 0xff00
	s_cmp_lt_i32 s5, 0
	s_cbranch_scc1 .LBB1_7
; %bb.5:                                ;   in Loop: Header=BB1_4 Depth=1
	s_lshr_b32 s9, s5, 1
	s_mov_b32 s8, exec_lo
	v_add_nc_u32_e32 v1, s9, v0
	v_lshlrev_b64 v[6:7], 2, v[1:2]
	v_add_co_u32 v6, vcc_lo, s3, v6
	v_add_co_ci_u32_e64 v7, null, s4, v7, vcc_lo
	global_load_dword v1, v[6:7], off
	s_waitcnt vmcnt(0)
	v_cmp_class_f16_e64 s9, v1, 0x204
	v_cmp_class_f16_sdwa s12, v1, v4 src0_sel:WORD_1 src1_sel:DWORD
	s_and_b32 s9, s9, s12
	v_cndmask_b32_e64 v1, 0, 1, s9
	v_cmp_ne_u32_e32 vcc_lo, 0, v1
	s_and_saveexec_b32 s9, s0
	s_cbranch_execz .LBB1_3
; %bb.6:                                ;   in Loop: Header=BB1_4 Depth=1
	s_cmp_eq_u32 vcc_lo, s8
	s_cselect_b32 s8, -1, 0
	v_cndmask_b32_e64 v1, 0, 1, s8
	ds_write_b32 v3, v1
	s_branch .LBB1_3
.LBB1_7:                                ;   in Loop: Header=BB1_4 Depth=1
	s_cbranch_execz .LBB1_4
.LBB1_8:
	s_mov_b32 s0, exec_lo
	v_cmpx_eq_u32_e32 0, v0
	s_cbranch_execz .LBB1_10
; %bb.9:
	s_mul_i32 s0, s1, s7
	v_mov_b32_e32 v0, 0
	s_add_i32 s0, s0, s6
	v_mov_b32_e32 v1, s2
	s_ashr_i32 s1, s0, 31
	s_lshl_b64 s[0:1], s[0:1], 2
	s_add_u32 s0, s10, s0
	s_addc_u32 s1, s11, s1
	global_store_dword v0, v1, s[0:1]
.LBB1_10:
	s_endpgm
	.section	.rodata,"a",@progbits
	.p2align	6, 0x0
	.amdhsa_kernel _ZL25flash_attn_mask_to_KV_maxILi1EEvPK7__half2Piiii
		.amdhsa_group_segment_fixed_size 128
		.amdhsa_private_segment_fixed_size 0
		.amdhsa_kernarg_size 288
		.amdhsa_user_sgpr_count 6
		.amdhsa_user_sgpr_private_segment_buffer 1
		.amdhsa_user_sgpr_dispatch_ptr 0
		.amdhsa_user_sgpr_queue_ptr 0
		.amdhsa_user_sgpr_kernarg_segment_ptr 1
		.amdhsa_user_sgpr_dispatch_id 0
		.amdhsa_user_sgpr_flat_scratch_init 0
		.amdhsa_user_sgpr_private_segment_size 0
		.amdhsa_wavefront_size32 1
		.amdhsa_uses_dynamic_stack 0
		.amdhsa_system_sgpr_private_segment_wavefront_offset 0
		.amdhsa_system_sgpr_workgroup_id_x 1
		.amdhsa_system_sgpr_workgroup_id_y 1
		.amdhsa_system_sgpr_workgroup_id_z 0
		.amdhsa_system_sgpr_workgroup_info 0
		.amdhsa_system_vgpr_workitem_id 0
		.amdhsa_next_free_vgpr 8
		.amdhsa_next_free_sgpr 16
		.amdhsa_reserve_vcc 1
		.amdhsa_reserve_flat_scratch 0
		.amdhsa_float_round_mode_32 0
		.amdhsa_float_round_mode_16_64 0
		.amdhsa_float_denorm_mode_32 3
		.amdhsa_float_denorm_mode_16_64 3
		.amdhsa_dx10_clamp 1
		.amdhsa_ieee_mode 1
		.amdhsa_fp16_overflow 0
		.amdhsa_workgroup_processor_mode 1
		.amdhsa_memory_ordered 1
		.amdhsa_forward_progress 1
		.amdhsa_shared_vgpr_count 0
		.amdhsa_exception_fp_ieee_invalid_op 0
		.amdhsa_exception_fp_denorm_src 0
		.amdhsa_exception_fp_ieee_div_zero 0
		.amdhsa_exception_fp_ieee_overflow 0
		.amdhsa_exception_fp_ieee_underflow 0
		.amdhsa_exception_fp_ieee_inexact 0
		.amdhsa_exception_int_div_zero 0
	.end_amdhsa_kernel
	.section	.text._ZL25flash_attn_mask_to_KV_maxILi1EEvPK7__half2Piiii,"axG",@progbits,_ZL25flash_attn_mask_to_KV_maxILi1EEvPK7__half2Piiii,comdat
.Lfunc_end1:
	.size	_ZL25flash_attn_mask_to_KV_maxILi1EEvPK7__half2Piiii, .Lfunc_end1-_ZL25flash_attn_mask_to_KV_maxILi1EEvPK7__half2Piiii
                                        ; -- End function
	.set _ZL25flash_attn_mask_to_KV_maxILi1EEvPK7__half2Piiii.num_vgpr, 8
	.set _ZL25flash_attn_mask_to_KV_maxILi1EEvPK7__half2Piiii.num_agpr, 0
	.set _ZL25flash_attn_mask_to_KV_maxILi1EEvPK7__half2Piiii.numbered_sgpr, 16
	.set _ZL25flash_attn_mask_to_KV_maxILi1EEvPK7__half2Piiii.num_named_barrier, 0
	.set _ZL25flash_attn_mask_to_KV_maxILi1EEvPK7__half2Piiii.private_seg_size, 0
	.set _ZL25flash_attn_mask_to_KV_maxILi1EEvPK7__half2Piiii.uses_vcc, 1
	.set _ZL25flash_attn_mask_to_KV_maxILi1EEvPK7__half2Piiii.uses_flat_scratch, 0
	.set _ZL25flash_attn_mask_to_KV_maxILi1EEvPK7__half2Piiii.has_dyn_sized_stack, 0
	.set _ZL25flash_attn_mask_to_KV_maxILi1EEvPK7__half2Piiii.has_recursion, 0
	.set _ZL25flash_attn_mask_to_KV_maxILi1EEvPK7__half2Piiii.has_indirect_call, 0
	.section	.AMDGPU.csdata,"",@progbits
; Kernel info:
; codeLenInByte = 452
; TotalNumSgprs: 18
; NumVgprs: 8
; ScratchSize: 0
; MemoryBound: 0
; FloatMode: 240
; IeeeMode: 1
; LDSByteSize: 128 bytes/workgroup (compile time only)
; SGPRBlocks: 0
; VGPRBlocks: 0
; NumSGPRsForWavesPerEU: 18
; NumVGPRsForWavesPerEU: 8
; Occupancy: 16
; WaveLimiterHint : 0
; COMPUTE_PGM_RSRC2:SCRATCH_EN: 0
; COMPUTE_PGM_RSRC2:USER_SGPR: 6
; COMPUTE_PGM_RSRC2:TRAP_HANDLER: 0
; COMPUTE_PGM_RSRC2:TGID_X_EN: 1
; COMPUTE_PGM_RSRC2:TGID_Y_EN: 1
; COMPUTE_PGM_RSRC2:TGID_Z_EN: 0
; COMPUTE_PGM_RSRC2:TIDIG_COMP_CNT: 0
	.section	.text._ZL33flash_attn_stream_k_fixup_uniformILi64ELi1ELi1EEvPfPK15HIP_vector_typeIfLj2EEiiiiiiS1_IjLj3EES5_S5_,"axG",@progbits,_ZL33flash_attn_stream_k_fixup_uniformILi64ELi1ELi1EEvPfPK15HIP_vector_typeIfLj2EEiiiiiiS1_IjLj3EES5_S5_,comdat
	.globl	_ZL33flash_attn_stream_k_fixup_uniformILi64ELi1ELi1EEvPfPK15HIP_vector_typeIfLj2EEiiiiiiS1_IjLj3EES5_S5_ ; -- Begin function _ZL33flash_attn_stream_k_fixup_uniformILi64ELi1ELi1EEvPfPK15HIP_vector_typeIfLj2EEiiiiiiS1_IjLj3EES5_S5_
	.p2align	8
	.type	_ZL33flash_attn_stream_k_fixup_uniformILi64ELi1ELi1EEvPfPK15HIP_vector_typeIfLj2EEiiiiiiS1_IjLj3EES5_S5_,@function
_ZL33flash_attn_stream_k_fixup_uniformILi64ELi1ELi1EEvPfPK15HIP_vector_typeIfLj2EEiiiiiiS1_IjLj3EES5_S5_: ; @_ZL33flash_attn_stream_k_fixup_uniformILi64ELi1ELi1EEvPfPK15HIP_vector_typeIfLj2EEiiiiiiS1_IjLj3EES5_S5_
; %bb.0:
	s_clause 0x1
	s_load_dwordx8 s[12:19], s[4:5], 0x1c
	s_load_dwordx4 s[0:3], s[4:5], 0x3c
	s_waitcnt lgkmcnt(0)
	s_mul_hi_u32 s9, s15, s6
	s_add_i32 s9, s6, s9
	s_lshr_b32 s9, s9, s16
	s_mul_i32 s10, s9, s17
	s_sub_i32 s16, s6, s10
	s_load_dwordx2 s[10:11], s[4:5], 0x10
	s_mul_hi_u32 s15, s16, s18
	s_add_i32 s15, s16, s15
	s_lshr_b32 s15, s15, s19
	s_mul_i32 s0, s15, s0
	s_sub_i32 s0, s16, s0
	s_mul_hi_u32 s1, s0, s1
	s_add_i32 s1, s0, s1
	s_lshr_b32 s17, s1, s2
	s_mul_i32 s1, s17, s3
	s_sub_i32 s16, s0, s1
	s_add_i32 s16, s16, s7
	s_waitcnt lgkmcnt(0)
	s_cmp_lt_i32 s16, s10
	s_cselect_b32 s0, -1, 0
	s_add_i32 s17, s17, s8
	s_cmp_lt_i32 s17, s13
	s_cselect_b32 s1, -1, 0
	s_and_b32 s0, s0, s1
	s_andn2_b32 vcc_lo, exec_lo, s0
	s_cbranch_vccnz .LBB2_6
; %bb.1:
	s_mul_i32 s9, s9, s10
	s_load_dwordx4 s[0:3], s[4:5], 0x0
	s_mul_i32 s15, s15, s13
	s_add_i32 s4, s16, s9
	s_add_i32 s5, s17, s15
	s_mul_i32 s4, s4, s11
	s_add_i32 s5, s5, s4
	s_mul_i32 s4, s14, s6
	v_lshl_or_b32 v1, s5, 6, v0
	s_add_i32 s6, s7, s8
	s_add_i32 s5, s4, s14
	;; [unrolled: 1-line block ×3, first 2 shown]
	v_ashrrev_i32_e32 v2, 31, v1
	v_lshlrev_b64 v[1:2], 2, v[1:2]
	s_waitcnt lgkmcnt(0)
	v_add_co_u32 v1, vcc_lo, s0, v1
	v_add_co_ci_u32_e64 v2, null, s1, v2, vcc_lo
	s_add_i32 s0, s7, -1
	s_ashr_i32 s1, s0, 31
	global_load_dword v5, v[1:2], off
	s_lshl_b64 s[0:1], s[0:1], 3
	s_add_u32 s0, s2, s0
	s_addc_u32 s1, s3, s1
	s_add_i32 s9, s5, -2
	s_load_dword s8, s[0:1], 0x4
	s_cmp_lt_i32 s9, s4
	s_cbranch_scc1 .LBB2_4
; %bb.2:
	s_load_dword s9, s[0:1], 0x0
	v_lshl_or_b32 v0, s7, 6, v0
	s_lshl_b32 s0, s12, 2
	s_waitcnt lgkmcnt(0)
	v_mov_b32_e32 v6, s8
	s_ashr_i32 s1, s0, 31
	s_lshl_b64 s[0:1], s[0:1], 2
	v_add_nc_u32_e32 v3, 0xffffff80, v0
	s_add_u32 s0, s2, s0
	s_addc_u32 s1, s3, s1
	s_add_i32 s5, s5, -1
	s_add_i32 s6, s6, s12
	v_mov_b32_e32 v0, s9
.LBB2_3:                                ; =>This Inner Loop Header: Depth=1
	v_ashrrev_i32_e32 v4, 31, v3
	s_add_i32 s5, s5, -1
	s_add_i32 s8, s5, s6
	s_ashr_i32 s9, s8, 31
	v_lshlrev_b64 v[7:8], 2, v[3:4]
	s_lshl_b64 s[8:9], s[8:9], 3
	v_subrev_nc_u32_e32 v3, 64, v3
	s_add_u32 s8, s2, s8
	s_addc_u32 s9, s3, s9
	s_cmp_le_i32 s5, s4
	v_add_co_u32 v7, vcc_lo, s0, v7
	v_add_co_ci_u32_e64 v8, null, s1, v8, vcc_lo
	s_load_dwordx2 s[8:9], s[8:9], 0x0
	global_load_dword v4, v[7:8], off
	v_max_f32_e32 v7, v0, v0
	s_waitcnt lgkmcnt(0)
	v_max_f32_e64 v8, s8, s8
	v_max_f32_e32 v7, v7, v8
	v_sub_f32_e32 v8, s8, v7
	v_sub_f32_e32 v0, v0, v7
	v_mul_f32_e32 v9, 0x3fb8aa3b, v8
	v_mul_f32_e32 v12, 0x3fb8aa3b, v0
	v_cmp_ngt_f32_e32 vcc_lo, 0xc2ce8ed0, v8
	v_fma_f32 v10, 0x3fb8aa3b, v8, -v9
	v_rndne_f32_e32 v11, v9
	v_fma_f32 v13, 0x3fb8aa3b, v0, -v12
	v_rndne_f32_e32 v14, v12
	v_fmac_f32_e32 v10, 0x32a5705f, v8
	v_sub_f32_e32 v9, v9, v11
	v_fmac_f32_e32 v13, 0x32a5705f, v0
	v_cvt_i32_f32_e32 v11, v11
	v_add_f32_e32 v9, v9, v10
	v_sub_f32_e32 v10, v12, v14
	v_exp_f32_e32 v9, v9
	v_add_f32_e32 v10, v10, v13
	v_exp_f32_e32 v10, v10
	v_ldexp_f32 v9, v9, v11
	v_cvt_i32_f32_e32 v11, v14
	v_cndmask_b32_e32 v9, 0, v9, vcc_lo
	v_cmp_nlt_f32_e32 vcc_lo, 0x42b17218, v8
	v_ldexp_f32 v10, v10, v11
	v_mov_b32_e32 v11, v6
	v_cndmask_b32_e32 v9, 0x7f800000, v9, vcc_lo
	v_cmp_ngt_f32_e32 vcc_lo, 0xc2ce8ed0, v0
	v_cndmask_b32_e32 v10, 0, v10, vcc_lo
	v_cmp_le_f32_e32 vcc_lo, 0xc1a00000, v8
	v_cndmask_b32_e32 v8, 0, v9, vcc_lo
	v_cmp_nlt_f32_e32 vcc_lo, 0x42b17218, v0
	s_waitcnt vmcnt(1)
	v_mov_b32_e32 v9, v5
	v_cndmask_b32_e32 v5, 0x7f800000, v10, vcc_lo
	v_mul_f32_e32 v10, s9, v8
	v_cmp_le_f32_e32 vcc_lo, 0xc1a00000, v0
	v_mov_b32_e32 v0, v7
	v_mov_b32_e32 v6, v10
	v_cndmask_b32_e32 v12, 0, v5, vcc_lo
	v_fmac_f32_e32 v6, v11, v12
	s_waitcnt vmcnt(0)
	v_mul_f32_e32 v5, v4, v8
	v_fmac_f32_e32 v5, v9, v12
	s_cbranch_scc0 .LBB2_3
	s_branch .LBB2_5
.LBB2_4:
	s_waitcnt lgkmcnt(0)
	v_mov_b32_e32 v6, s8
.LBB2_5:
	s_waitcnt vmcnt(0)
	v_div_scale_f32 v0, null, v6, v6, v5
	v_rcp_f32_e32 v3, v0
	v_fma_f32 v4, -v0, v3, 1.0
	v_fmac_f32_e32 v3, v4, v3
	v_div_scale_f32 v4, vcc_lo, v5, v6, v5
	v_mul_f32_e32 v7, v4, v3
	v_fma_f32 v8, -v0, v7, v4
	v_fmac_f32_e32 v7, v8, v3
	v_fma_f32 v0, -v0, v7, v4
	v_div_fmas_f32 v0, v0, v3, v7
	v_div_fixup_f32 v0, v0, v6, v5
	global_store_dword v[1:2], v0, off
.LBB2_6:
	s_endpgm
	.section	.rodata,"a",@progbits
	.p2align	6, 0x0
	.amdhsa_kernel _ZL33flash_attn_stream_k_fixup_uniformILi64ELi1ELi1EEvPfPK15HIP_vector_typeIfLj2EEiiiiiiS1_IjLj3EES5_S5_
		.amdhsa_group_segment_fixed_size 0
		.amdhsa_private_segment_fixed_size 0
		.amdhsa_kernarg_size 76
		.amdhsa_user_sgpr_count 6
		.amdhsa_user_sgpr_private_segment_buffer 1
		.amdhsa_user_sgpr_dispatch_ptr 0
		.amdhsa_user_sgpr_queue_ptr 0
		.amdhsa_user_sgpr_kernarg_segment_ptr 1
		.amdhsa_user_sgpr_dispatch_id 0
		.amdhsa_user_sgpr_flat_scratch_init 0
		.amdhsa_user_sgpr_private_segment_size 0
		.amdhsa_wavefront_size32 1
		.amdhsa_uses_dynamic_stack 0
		.amdhsa_system_sgpr_private_segment_wavefront_offset 0
		.amdhsa_system_sgpr_workgroup_id_x 1
		.amdhsa_system_sgpr_workgroup_id_y 1
		.amdhsa_system_sgpr_workgroup_id_z 1
		.amdhsa_system_sgpr_workgroup_info 0
		.amdhsa_system_vgpr_workitem_id 0
		.amdhsa_next_free_vgpr 15
		.amdhsa_next_free_sgpr 20
		.amdhsa_reserve_vcc 1
		.amdhsa_reserve_flat_scratch 0
		.amdhsa_float_round_mode_32 0
		.amdhsa_float_round_mode_16_64 0
		.amdhsa_float_denorm_mode_32 3
		.amdhsa_float_denorm_mode_16_64 3
		.amdhsa_dx10_clamp 1
		.amdhsa_ieee_mode 1
		.amdhsa_fp16_overflow 0
		.amdhsa_workgroup_processor_mode 1
		.amdhsa_memory_ordered 1
		.amdhsa_forward_progress 1
		.amdhsa_shared_vgpr_count 0
		.amdhsa_exception_fp_ieee_invalid_op 0
		.amdhsa_exception_fp_denorm_src 0
		.amdhsa_exception_fp_ieee_div_zero 0
		.amdhsa_exception_fp_ieee_overflow 0
		.amdhsa_exception_fp_ieee_underflow 0
		.amdhsa_exception_fp_ieee_inexact 0
		.amdhsa_exception_int_div_zero 0
	.end_amdhsa_kernel
	.section	.text._ZL33flash_attn_stream_k_fixup_uniformILi64ELi1ELi1EEvPfPK15HIP_vector_typeIfLj2EEiiiiiiS1_IjLj3EES5_S5_,"axG",@progbits,_ZL33flash_attn_stream_k_fixup_uniformILi64ELi1ELi1EEvPfPK15HIP_vector_typeIfLj2EEiiiiiiS1_IjLj3EES5_S5_,comdat
.Lfunc_end2:
	.size	_ZL33flash_attn_stream_k_fixup_uniformILi64ELi1ELi1EEvPfPK15HIP_vector_typeIfLj2EEiiiiiiS1_IjLj3EES5_S5_, .Lfunc_end2-_ZL33flash_attn_stream_k_fixup_uniformILi64ELi1ELi1EEvPfPK15HIP_vector_typeIfLj2EEiiiiiiS1_IjLj3EES5_S5_
                                        ; -- End function
	.set _ZL33flash_attn_stream_k_fixup_uniformILi64ELi1ELi1EEvPfPK15HIP_vector_typeIfLj2EEiiiiiiS1_IjLj3EES5_S5_.num_vgpr, 15
	.set _ZL33flash_attn_stream_k_fixup_uniformILi64ELi1ELi1EEvPfPK15HIP_vector_typeIfLj2EEiiiiiiS1_IjLj3EES5_S5_.num_agpr, 0
	.set _ZL33flash_attn_stream_k_fixup_uniformILi64ELi1ELi1EEvPfPK15HIP_vector_typeIfLj2EEiiiiiiS1_IjLj3EES5_S5_.numbered_sgpr, 20
	.set _ZL33flash_attn_stream_k_fixup_uniformILi64ELi1ELi1EEvPfPK15HIP_vector_typeIfLj2EEiiiiiiS1_IjLj3EES5_S5_.num_named_barrier, 0
	.set _ZL33flash_attn_stream_k_fixup_uniformILi64ELi1ELi1EEvPfPK15HIP_vector_typeIfLj2EEiiiiiiS1_IjLj3EES5_S5_.private_seg_size, 0
	.set _ZL33flash_attn_stream_k_fixup_uniformILi64ELi1ELi1EEvPfPK15HIP_vector_typeIfLj2EEiiiiiiS1_IjLj3EES5_S5_.uses_vcc, 1
	.set _ZL33flash_attn_stream_k_fixup_uniformILi64ELi1ELi1EEvPfPK15HIP_vector_typeIfLj2EEiiiiiiS1_IjLj3EES5_S5_.uses_flat_scratch, 0
	.set _ZL33flash_attn_stream_k_fixup_uniformILi64ELi1ELi1EEvPfPK15HIP_vector_typeIfLj2EEiiiiiiS1_IjLj3EES5_S5_.has_dyn_sized_stack, 0
	.set _ZL33flash_attn_stream_k_fixup_uniformILi64ELi1ELi1EEvPfPK15HIP_vector_typeIfLj2EEiiiiiiS1_IjLj3EES5_S5_.has_recursion, 0
	.set _ZL33flash_attn_stream_k_fixup_uniformILi64ELi1ELi1EEvPfPK15HIP_vector_typeIfLj2EEiiiiiiS1_IjLj3EES5_S5_.has_indirect_call, 0
	.section	.AMDGPU.csdata,"",@progbits
; Kernel info:
; codeLenInByte = 772
; TotalNumSgprs: 22
; NumVgprs: 15
; ScratchSize: 0
; MemoryBound: 0
; FloatMode: 240
; IeeeMode: 1
; LDSByteSize: 0 bytes/workgroup (compile time only)
; SGPRBlocks: 0
; VGPRBlocks: 1
; NumSGPRsForWavesPerEU: 22
; NumVGPRsForWavesPerEU: 15
; Occupancy: 16
; WaveLimiterHint : 0
; COMPUTE_PGM_RSRC2:SCRATCH_EN: 0
; COMPUTE_PGM_RSRC2:USER_SGPR: 6
; COMPUTE_PGM_RSRC2:TRAP_HANDLER: 0
; COMPUTE_PGM_RSRC2:TGID_X_EN: 1
; COMPUTE_PGM_RSRC2:TGID_Y_EN: 1
; COMPUTE_PGM_RSRC2:TGID_Z_EN: 1
; COMPUTE_PGM_RSRC2:TIDIG_COMP_CNT: 0
	.section	.text._ZL33flash_attn_stream_k_fixup_generalILi64ELi1ELi1EEvPfPK15HIP_vector_typeIfLj2EEiiiiS1_IjLj3EES5_S5_S5_,"axG",@progbits,_ZL33flash_attn_stream_k_fixup_generalILi64ELi1ELi1EEvPfPK15HIP_vector_typeIfLj2EEiiiiS1_IjLj3EES5_S5_S5_,comdat
	.globl	_ZL33flash_attn_stream_k_fixup_generalILi64ELi1ELi1EEvPfPK15HIP_vector_typeIfLj2EEiiiiS1_IjLj3EES5_S5_S5_ ; -- Begin function _ZL33flash_attn_stream_k_fixup_generalILi64ELi1ELi1EEvPfPK15HIP_vector_typeIfLj2EEiiiiS1_IjLj3EES5_S5_S5_
	.p2align	8
	.type	_ZL33flash_attn_stream_k_fixup_generalILi64ELi1ELi1EEvPfPK15HIP_vector_typeIfLj2EEiiiiS1_IjLj3EES5_S5_S5_,@function
_ZL33flash_attn_stream_k_fixup_generalILi64ELi1ELi1EEvPfPK15HIP_vector_typeIfLj2EEiiiiS1_IjLj3EES5_S5_S5_: ; @_ZL33flash_attn_stream_k_fixup_generalILi64ELi1ELi1EEvPfPK15HIP_vector_typeIfLj2EEiiiiS1_IjLj3EES5_S5_S5_
; %bb.0:
	s_clause 0x1
	s_load_dwordx4 s[0:3], s[4:5], 0x10
	s_load_dword s9, s[4:5], 0x50
	s_mov_b32 s16, 0
	s_waitcnt lgkmcnt(0)
	s_mul_hi_i32 s17, s3, s6
	s_mul_i32 s18, s3, s6
	s_cmp_lg_u64 s[16:17], 0
	s_cbranch_scc0 .LBB3_21
; %bb.1:
	s_add_u32 s10, s9, 0
	s_addc_u32 s11, 0, 0
	s_xor_b64 s[10:11], s[10:11], 0
	v_cvt_f32_u32_e32 v1, s10
	v_cvt_f32_u32_e32 v2, s11
	s_sub_u32 s14, 0, s10
	s_subb_u32 s15, 0, s11
	v_fmamk_f32 v1, v2, 0x4f800000, v1
	v_rcp_f32_e32 v1, v1
	v_mul_f32_e32 v1, 0x5f7ffffc, v1
	v_mul_f32_e32 v2, 0x2f800000, v1
	v_trunc_f32_e32 v2, v2
	v_fmamk_f32 v1, v2, 0xcf800000, v1
	v_cvt_u32_f32_e32 v2, v2
	v_cvt_u32_f32_e32 v1, v1
	v_readfirstlane_b32 s12, v2
	v_readfirstlane_b32 s13, v1
	s_mul_i32 s19, s14, s12
	s_mul_hi_u32 s21, s14, s13
	s_mul_i32 s20, s15, s13
	s_add_i32 s19, s21, s19
	s_mul_i32 s22, s14, s13
	s_add_i32 s19, s19, s20
	s_mul_hi_u32 s21, s13, s22
	s_mul_i32 s24, s13, s19
	s_mul_hi_u32 s23, s12, s22
	s_mul_i32 s20, s12, s22
	s_mul_hi_u32 s22, s13, s19
	s_add_u32 s21, s21, s24
	s_addc_u32 s22, 0, s22
	s_mul_hi_u32 s25, s12, s19
	s_add_u32 s20, s21, s20
	s_mul_i32 s19, s12, s19
	s_addc_u32 s20, s22, s23
	s_addc_u32 s21, s25, 0
	s_add_u32 s19, s20, s19
	s_addc_u32 s20, 0, s21
	s_add_u32 s13, s13, s19
	s_cselect_b32 s19, -1, 0
	s_mul_hi_u32 s21, s14, s13
	s_cmp_lg_u32 s19, 0
	s_mul_i32 s19, s14, s13
	s_addc_u32 s12, s12, s20
	s_mul_i32 s15, s15, s13
	s_mul_i32 s14, s14, s12
	s_mul_hi_u32 s20, s13, s19
	s_add_i32 s14, s21, s14
	s_mul_hi_u32 s21, s12, s19
	s_add_i32 s14, s14, s15
	s_mul_i32 s15, s12, s19
	s_mul_i32 s23, s13, s14
	s_mul_hi_u32 s22, s13, s14
	s_add_u32 s20, s20, s23
	s_addc_u32 s22, 0, s22
	s_mul_hi_u32 s19, s12, s14
	s_add_u32 s15, s20, s15
	s_mul_i32 s14, s12, s14
	s_addc_u32 s15, s22, s21
	s_addc_u32 s19, s19, 0
	s_add_u32 s14, s15, s14
	s_addc_u32 s15, 0, s19
	s_add_u32 s19, s13, s14
	s_cselect_b32 s13, -1, 0
	s_cmp_lg_u32 s13, 0
	s_addc_u32 s20, s12, s15
	s_ashr_i32 s12, s17, 31
	s_add_u32 s14, s18, s12
	s_mov_b32 s13, s12
	s_addc_u32 s15, s17, s12
	s_xor_b64 s[14:15], s[14:15], s[12:13]
	s_mul_i32 s21, s14, s20
	s_mul_hi_u32 s22, s14, s19
	s_mul_hi_u32 s17, s14, s20
	;; [unrolled: 1-line block ×3, first 2 shown]
	s_mul_i32 s19, s15, s19
	s_add_u32 s21, s22, s21
	s_addc_u32 s17, 0, s17
	s_mul_hi_u32 s23, s15, s20
	s_add_u32 s19, s21, s19
	s_mul_i32 s20, s15, s20
	s_addc_u32 s17, s17, s24
	s_addc_u32 s19, s23, 0
	s_add_u32 s17, s17, s20
	s_addc_u32 s19, 0, s19
	s_mul_hi_u32 s20, s10, s17
	s_mul_i32 s21, s10, s19
	s_mul_i32 s22, s11, s17
	s_add_i32 s20, s20, s21
	s_mul_i32 s21, s10, s17
	s_add_i32 s20, s20, s22
	s_sub_i32 s22, s15, s20
	s_sub_u32 s14, s14, s21
	s_cselect_b32 s21, -1, 0
	s_cmp_lg_u32 s21, 0
	s_subb_u32 s22, s22, s11
	s_sub_u32 s23, s14, s10
	s_cselect_b32 s24, -1, 0
	s_cmp_lg_u32 s24, 0
	s_subb_u32 s22, s22, 0
	s_cmp_ge_u32 s22, s11
	s_cselect_b32 s24, -1, 0
	s_cmp_ge_u32 s23, s10
	s_cselect_b32 s23, -1, 0
	s_cmp_eq_u32 s22, s11
	s_cselect_b32 s22, s23, s24
	s_add_u32 s23, s17, 1
	s_addc_u32 s24, s19, 0
	s_add_u32 s25, s17, 2
	s_addc_u32 s26, s19, 0
	s_cmp_lg_u32 s22, 0
	s_cselect_b32 s22, s25, s23
	s_cselect_b32 s23, s26, s24
	s_cmp_lg_u32 s21, 0
	s_subb_u32 s15, s15, s20
	s_cmp_ge_u32 s15, s11
	s_cselect_b32 s20, -1, 0
	s_cmp_ge_u32 s14, s10
	s_cselect_b32 s10, -1, 0
	s_cmp_eq_u32 s15, s11
	s_cselect_b32 s10, s10, s20
	s_cmp_lg_u32 s10, 0
	s_cselect_b32 s11, s23, s19
	s_cselect_b32 s10, s22, s17
	s_xor_b64 s[12:13], s[12:13], 0
	s_xor_b64 s[10:11], s[10:11], s[12:13]
	s_sub_u32 s10, s10, s12
	s_load_dwordx4 s[12:15], s[4:5], 0x44
	s_andn2_b32 vcc_lo, exec_lo, s16
	s_cbranch_vccnz .LBB3_3
.LBB3_2:
	v_cvt_f32_u32_e32 v1, s9
	s_sub_i32 s11, 0, s9
	v_rcp_iflag_f32_e32 v1, v1
	v_mul_f32_e32 v1, 0x4f7ffffe, v1
	v_cvt_u32_f32_e32 v1, v1
	v_readfirstlane_b32 s10, v1
	s_mul_i32 s11, s11, s10
	s_mul_hi_u32 s11, s10, s11
	s_add_i32 s10, s10, s11
	s_mul_hi_u32 s10, s18, s10
	s_mul_i32 s11, s10, s9
	s_waitcnt lgkmcnt(0)
	s_add_i32 s15, s10, 1
	s_sub_i32 s11, s18, s11
	s_sub_i32 s16, s11, s9
	s_cmp_ge_u32 s11, s9
	s_cselect_b32 s10, s15, s10
	s_cselect_b32 s11, s16, s11
	s_add_i32 s15, s10, 1
	s_cmp_ge_u32 s11, s9
	s_cselect_b32 s10, s15, s10
.LBB3_3:
	s_add_i32 s11, s6, 1
	s_mov_b32 s16, 0
	s_mul_hi_i32 s17, s3, s11
	s_mul_i32 s11, s3, s11
	s_cmp_lg_u64 s[16:17], 0
	s_cbranch_scc0 .LBB3_22
; %bb.4:
	s_add_u32 s18, s9, 0
	s_addc_u32 s19, 0, 0
	s_xor_b64 s[18:19], s[18:19], 0
	v_cvt_f32_u32_e32 v1, s18
	v_cvt_f32_u32_e32 v2, s19
	s_sub_u32 s21, 0, s18
	s_subb_u32 s22, 0, s19
	v_fmamk_f32 v1, v2, 0x4f800000, v1
	v_rcp_f32_e32 v1, v1
	v_mul_f32_e32 v1, 0x5f7ffffc, v1
	v_mul_f32_e32 v2, 0x2f800000, v1
	v_trunc_f32_e32 v2, v2
	v_fmamk_f32 v1, v2, 0xcf800000, v1
	v_cvt_u32_f32_e32 v2, v2
	v_cvt_u32_f32_e32 v1, v1
	s_waitcnt lgkmcnt(0)
	v_readfirstlane_b32 s15, v2
	v_readfirstlane_b32 s20, v1
	s_mul_i32 s23, s21, s15
	s_mul_hi_u32 s25, s21, s20
	s_mul_i32 s24, s22, s20
	s_add_i32 s23, s25, s23
	s_mul_i32 s26, s21, s20
	s_add_i32 s23, s23, s24
	s_mul_hi_u32 s25, s20, s26
	s_mul_i32 s28, s20, s23
	s_mul_hi_u32 s27, s15, s26
	s_mul_i32 s24, s15, s26
	s_mul_hi_u32 s26, s20, s23
	s_add_u32 s25, s25, s28
	s_addc_u32 s26, 0, s26
	s_mul_hi_u32 s29, s15, s23
	s_add_u32 s24, s25, s24
	s_mul_i32 s23, s15, s23
	s_addc_u32 s24, s26, s27
	s_addc_u32 s25, s29, 0
	s_add_u32 s23, s24, s23
	s_addc_u32 s24, 0, s25
	s_add_u32 s20, s20, s23
	s_cselect_b32 s23, -1, 0
	s_mul_hi_u32 s25, s21, s20
	s_cmp_lg_u32 s23, 0
	s_mul_i32 s23, s21, s20
	s_addc_u32 s15, s15, s24
	s_mul_i32 s22, s22, s20
	s_mul_i32 s21, s21, s15
	s_mul_hi_u32 s24, s20, s23
	s_add_i32 s21, s25, s21
	s_mul_hi_u32 s25, s15, s23
	s_add_i32 s21, s21, s22
	s_mul_i32 s22, s15, s23
	s_mul_i32 s27, s20, s21
	s_mul_hi_u32 s26, s20, s21
	s_add_u32 s24, s24, s27
	s_addc_u32 s26, 0, s26
	s_mul_hi_u32 s23, s15, s21
	s_add_u32 s22, s24, s22
	s_mul_i32 s21, s15, s21
	s_addc_u32 s22, s26, s25
	s_addc_u32 s23, s23, 0
	s_add_u32 s21, s22, s21
	s_addc_u32 s22, 0, s23
	s_add_u32 s24, s20, s21
	s_cselect_b32 s20, -1, 0
	s_cmp_lg_u32 s20, 0
	s_addc_u32 s15, s15, s22
	s_ashr_i32 s20, s17, 31
	s_add_u32 s22, s11, s20
	s_mov_b32 s21, s20
	s_addc_u32 s23, s17, s20
	s_xor_b64 s[22:23], s[22:23], s[20:21]
	s_mul_i32 s25, s22, s15
	s_mul_hi_u32 s26, s22, s24
	s_mul_hi_u32 s17, s22, s15
	;; [unrolled: 1-line block ×3, first 2 shown]
	s_mul_i32 s24, s23, s24
	s_add_u32 s25, s26, s25
	s_addc_u32 s17, 0, s17
	s_mul_hi_u32 s27, s23, s15
	s_add_u32 s24, s25, s24
	s_mul_i32 s15, s23, s15
	s_addc_u32 s17, s17, s28
	s_addc_u32 s24, s27, 0
	s_add_u32 s15, s17, s15
	s_addc_u32 s17, 0, s24
	s_mul_hi_u32 s24, s18, s15
	s_mul_i32 s25, s18, s17
	s_mul_i32 s26, s19, s15
	s_add_i32 s24, s24, s25
	s_mul_i32 s25, s18, s15
	s_add_i32 s24, s24, s26
	s_sub_i32 s26, s23, s24
	s_sub_u32 s22, s22, s25
	s_cselect_b32 s25, -1, 0
	s_cmp_lg_u32 s25, 0
	s_subb_u32 s26, s26, s19
	s_sub_u32 s27, s22, s18
	s_cselect_b32 s28, -1, 0
	s_cmp_lg_u32 s28, 0
	s_subb_u32 s26, s26, 0
	s_cmp_ge_u32 s26, s19
	s_cselect_b32 s28, -1, 0
	s_cmp_ge_u32 s27, s18
	s_cselect_b32 s27, -1, 0
	s_cmp_eq_u32 s26, s19
	s_cselect_b32 s26, s27, s28
	s_add_u32 s27, s15, 1
	s_addc_u32 s28, s17, 0
	s_add_u32 s29, s15, 2
	s_addc_u32 s30, s17, 0
	s_cmp_lg_u32 s26, 0
	s_cselect_b32 s26, s29, s27
	s_cselect_b32 s27, s30, s28
	s_cmp_lg_u32 s25, 0
	s_subb_u32 s23, s23, s24
	s_cmp_ge_u32 s23, s19
	s_cselect_b32 s24, -1, 0
	s_cmp_ge_u32 s22, s18
	s_cselect_b32 s18, -1, 0
	s_cmp_eq_u32 s23, s19
	s_cselect_b32 s18, s18, s24
	s_cmp_lg_u32 s18, 0
	s_cselect_b32 s19, s27, s17
	s_cselect_b32 s18, s26, s15
	s_xor_b64 s[20:21], s[20:21], 0
	s_xor_b64 s[18:19], s[18:19], s[20:21]
	s_sub_u32 s18, s18, s20
	s_andn2_b32 vcc_lo, exec_lo, s16
	s_cbranch_vccnz .LBB3_6
.LBB3_5:
	v_cvt_f32_u32_e32 v1, s9
	s_sub_i32 s16, 0, s9
	v_rcp_iflag_f32_e32 v1, v1
	v_mul_f32_e32 v1, 0x4f7ffffe, v1
	v_cvt_u32_f32_e32 v1, v1
	s_waitcnt lgkmcnt(0)
	v_readfirstlane_b32 s15, v1
	s_mul_i32 s16, s16, s15
	s_mul_hi_u32 s16, s15, s16
	s_add_i32 s15, s15, s16
	s_mul_hi_u32 s15, s11, s15
	s_mul_i32 s16, s15, s9
	s_sub_i32 s11, s11, s16
	s_add_i32 s16, s15, 1
	s_sub_i32 s17, s11, s9
	s_cmp_ge_u32 s11, s9
	s_cselect_b32 s15, s16, s15
	s_cselect_b32 s11, s17, s11
	s_add_i32 s16, s15, 1
	s_cmp_ge_u32 s11, s9
	s_cselect_b32 s18, s16, s15
.LBB3_6:
	s_cmp_eq_u32 s10, s18
	s_waitcnt lgkmcnt(0)
	s_mul_hi_u32 s11, s10, s12
	s_cselect_b32 s15, -1, 0
	s_add_i32 s11, s11, s10
	s_lshr_b32 s11, s11, s13
	s_mul_i32 s16, s11, s14
	s_cmp_eq_u32 s16, s10
	s_mul_hi_u32 s16, s18, s12
	s_cselect_b32 s17, -1, 0
	s_add_i32 s16, s16, s18
	s_lshr_b32 s16, s16, s13
	s_cmp_eq_u32 s11, s16
	s_mul_i32 s16, s16, s14
	s_cselect_b32 s19, -1, 0
	s_cmp_lg_u32 s16, s18
	s_cselect_b32 s16, -1, 0
	s_or_b32 s15, s15, s17
	s_and_b32 s16, s19, s16
	s_or_b32 s15, s15, s16
	s_and_b32 vcc_lo, exec_lo, s15
	s_cbranch_vccnz .LBB3_24
; %bb.7:
	s_load_dwordx8 s[16:23], s[4:5], 0x20
	s_waitcnt lgkmcnt(0)
	s_mul_hi_u32 s15, s10, s16
	s_load_dword s16, s[4:5], 0x40
	s_add_i32 s15, s15, s10
	s_lshr_b32 s15, s15, s17
	s_mul_i32 s17, s15, s18
	s_sub_i32 s17, s10, s17
	s_mul_hi_u32 s18, s17, s19
	s_add_i32 s18, s17, s18
	s_lshr_b32 s20, s18, s20
	s_mul_i32 s18, s20, s21
	s_sub_i32 s17, s17, s18
	s_mul_hi_u32 s18, s17, s22
	s_add_i32 s18, s17, s18
	s_lshr_b32 s22, s18, s23
	s_waitcnt lgkmcnt(0)
	s_mul_i32 s16, s22, s16
	s_sub_i32 s16, s17, s16
	s_mul_hi_u32 s17, s16, s12
	s_add_i32 s16, s16, s17
	s_lshr_b32 s21, s16, s13
	s_add_i32 s21, s21, s7
	s_cmp_lt_i32 s21, s0
	s_cselect_b32 s16, -1, 0
	s_add_i32 s22, s22, s8
	s_cmp_lt_i32 s22, s2
	s_cselect_b32 s17, -1, 0
	s_and_b32 s16, s16, s17
	s_andn2_b32 vcc_lo, exec_lo, s16
	s_cbranch_vccnz .LBB3_24
; %bb.8:
	s_load_dwordx4 s[16:19], s[4:5], 0x0
	s_mov_b32 s4, 0
	s_lshl_b32 s24, s9, 2
	s_mov_b32 s25, s4
	s_add_i32 s8, s7, s8
	s_lshl_b64 s[24:25], s[24:25], 2
	s_mul_i32 s0, s15, s0
	s_mul_i32 s20, s20, s2
	v_cvt_f32_u32_e32 v3, s9
	v_rcp_iflag_f32_e32 v3, v3
	s_waitcnt lgkmcnt(0)
	s_add_u32 s2, s18, s24
	s_addc_u32 s15, s19, s25
	s_add_i32 s0, s21, s0
	s_add_i32 s5, s22, s20
	s_mul_i32 s0, s0, s1
	v_mul_f32_e32 v3, 0x4f7ffffe, v3
	s_add_i32 s5, s5, s0
	s_add_i32 s0, s8, s6
	v_lshl_or_b32 v1, s5, 6, v0
	s_ashr_i32 s1, s0, 31
	v_cvt_u32_f32_e32 v3, v3
	s_lshl_b64 s[0:1], s[0:1], 3
	v_ashrrev_i32_e32 v2, 31, v1
	s_add_u32 s0, s18, s0
	s_addc_u32 s1, s19, s1
	s_load_dwordx2 s[0:1], s[0:1], 0x0
	v_lshlrev_b64 v[1:2], 2, v[1:2]
	v_add_co_u32 v1, vcc_lo, s16, v1
	v_add_co_ci_u32_e64 v2, null, s17, v2, vcc_lo
	s_add_i32 s17, s6, -1
	s_sub_i32 s16, 0, s9
	global_load_dword v4, v[1:2], off
	s_waitcnt lgkmcnt(0)
	v_mov_b32_e32 v5, s1
	v_mov_b32_e32 v6, s0
.LBB3_9:                                ; =>This Inner Loop Header: Depth=1
	s_mul_hi_i32 s5, s17, s3
	s_mul_i32 s6, s17, s3
	s_cmp_lg_u64 s[4:5], 0
	s_mov_b32 s7, -1
                                        ; implicit-def: $sgpr0_sgpr1
	s_cbranch_scc0 .LBB3_11
; %bb.10:                               ;   in Loop: Header=BB3_9 Depth=1
	s_add_u32 s0, s9, 0
	s_addc_u32 s1, 0, 0
	s_xor_b64 s[0:1], s[0:1], 0
	v_cvt_f32_u32_e32 v7, s0
	v_cvt_f32_u32_e32 v8, s1
	s_sub_u32 s21, 0, s0
	s_subb_u32 s22, 0, s1
	v_fmac_f32_e32 v7, 0x4f800000, v8
	v_rcp_f32_e32 v7, v7
	v_mul_f32_e32 v7, 0x5f7ffffc, v7
	v_mul_f32_e32 v8, 0x2f800000, v7
	v_trunc_f32_e32 v8, v8
	v_fmac_f32_e32 v7, 0xcf800000, v8
	v_cvt_u32_f32_e32 v8, v8
	v_cvt_u32_f32_e32 v7, v7
	v_readfirstlane_b32 s7, v8
	v_readfirstlane_b32 s20, v7
	s_mul_i32 s23, s21, s7
	s_mul_hi_u32 s25, s21, s20
	s_mul_i32 s24, s22, s20
	s_add_i32 s23, s25, s23
	s_mul_i32 s26, s21, s20
	s_add_i32 s23, s23, s24
	s_mul_hi_u32 s25, s20, s26
	s_mul_i32 s28, s20, s23
	s_mul_hi_u32 s27, s7, s26
	s_mul_i32 s24, s7, s26
	s_mul_hi_u32 s26, s20, s23
	s_add_u32 s25, s25, s28
	s_addc_u32 s26, 0, s26
	s_mul_hi_u32 s29, s7, s23
	s_add_u32 s24, s25, s24
	s_mul_i32 s23, s7, s23
	s_addc_u32 s24, s26, s27
	s_addc_u32 s25, s29, 0
	s_add_u32 s23, s24, s23
	s_addc_u32 s24, 0, s25
	s_add_u32 s20, s20, s23
	s_cselect_b32 s23, -1, 0
	s_mul_hi_u32 s25, s21, s20
	s_cmp_lg_u32 s23, 0
	s_mul_i32 s23, s21, s20
	s_addc_u32 s7, s7, s24
	s_mul_i32 s22, s22, s20
	s_mul_i32 s21, s21, s7
	s_mul_hi_u32 s24, s20, s23
	s_add_i32 s21, s25, s21
	s_mul_hi_u32 s25, s7, s23
	s_add_i32 s21, s21, s22
	s_mul_i32 s22, s7, s23
	s_mul_i32 s27, s20, s21
	s_mul_hi_u32 s26, s20, s21
	s_add_u32 s24, s24, s27
	s_addc_u32 s26, 0, s26
	s_mul_hi_u32 s23, s7, s21
	s_add_u32 s22, s24, s22
	s_mul_i32 s21, s7, s21
	s_addc_u32 s22, s26, s25
	s_addc_u32 s23, s23, 0
	s_add_u32 s21, s22, s21
	s_addc_u32 s22, 0, s23
	s_add_u32 s24, s20, s21
	s_cselect_b32 s20, -1, 0
	s_cmp_lg_u32 s20, 0
	s_addc_u32 s7, s7, s22
	s_ashr_i32 s20, s5, 31
	s_add_u32 s22, s6, s20
	s_mov_b32 s21, s20
	s_addc_u32 s23, s5, s20
	s_xor_b64 s[22:23], s[22:23], s[20:21]
	s_mul_i32 s25, s22, s7
	s_mul_hi_u32 s26, s22, s24
	s_mul_hi_u32 s5, s22, s7
	;; [unrolled: 1-line block ×3, first 2 shown]
	s_mul_i32 s24, s23, s24
	s_add_u32 s25, s26, s25
	s_addc_u32 s5, 0, s5
	s_mul_hi_u32 s27, s23, s7
	s_add_u32 s24, s25, s24
	s_mul_i32 s7, s23, s7
	s_addc_u32 s5, s5, s28
	s_addc_u32 s24, s27, 0
	s_add_u32 s5, s5, s7
	s_addc_u32 s7, 0, s24
	s_mul_hi_u32 s24, s0, s5
	s_mul_i32 s25, s0, s7
	s_mul_i32 s26, s1, s5
	s_add_i32 s24, s24, s25
	s_mul_i32 s25, s0, s5
	s_add_i32 s24, s24, s26
	s_sub_i32 s26, s23, s24
	s_sub_u32 s22, s22, s25
	s_cselect_b32 s25, -1, 0
	s_cmp_lg_u32 s25, 0
	s_subb_u32 s26, s26, s1
	s_sub_u32 s27, s22, s0
	s_cselect_b32 s28, -1, 0
	s_cmp_lg_u32 s28, 0
	s_subb_u32 s26, s26, 0
	s_cmp_ge_u32 s26, s1
	s_cselect_b32 s28, -1, 0
	s_cmp_ge_u32 s27, s0
	s_cselect_b32 s27, -1, 0
	s_cmp_eq_u32 s26, s1
	s_cselect_b32 s26, s27, s28
	s_add_u32 s27, s5, 1
	s_addc_u32 s28, s7, 0
	s_add_u32 s29, s5, 2
	s_addc_u32 s30, s7, 0
	s_cmp_lg_u32 s26, 0
	s_cselect_b32 s26, s29, s27
	s_cselect_b32 s27, s30, s28
	s_cmp_lg_u32 s25, 0
	s_subb_u32 s23, s23, s24
	s_cmp_ge_u32 s23, s1
	s_cselect_b32 s24, -1, 0
	s_cmp_ge_u32 s22, s0
	s_cselect_b32 s0, -1, 0
	s_cmp_eq_u32 s23, s1
	s_cselect_b32 s0, s0, s24
	s_cmp_lg_u32 s0, 0
	s_cselect_b32 s1, s27, s7
	s_cselect_b32 s0, s26, s5
	s_xor_b64 s[20:21], s[20:21], 0
	s_mov_b32 s7, 0
	s_xor_b64 s[0:1], s[0:1], s[20:21]
	s_sub_u32 s0, s0, s20
.LBB3_11:                               ;   in Loop: Header=BB3_9 Depth=1
	s_andn2_b32 vcc_lo, exec_lo, s7
	s_cbranch_vccnz .LBB3_13
; %bb.12:                               ;   in Loop: Header=BB3_9 Depth=1
	v_readfirstlane_b32 s0, v3
	s_mul_i32 s1, s16, s0
	s_mul_hi_u32 s1, s0, s1
	s_add_i32 s0, s0, s1
	s_mul_hi_u32 s0, s6, s0
	s_mul_i32 s1, s0, s9
	s_add_i32 s5, s0, 1
	s_sub_i32 s1, s6, s1
	s_sub_i32 s6, s1, s9
	s_cmp_ge_u32 s1, s9
	s_cselect_b32 s0, s5, s0
	s_cselect_b32 s1, s6, s1
	s_add_i32 s5, s0, 1
	s_cmp_ge_u32 s1, s9
	s_cselect_b32 s0, s5, s0
.LBB3_13:                               ;   in Loop: Header=BB3_9 Depth=1
	s_cmp_lg_u32 s10, s0
	s_mov_b32 s6, -1
                                        ; implicit-def: $sgpr5
                                        ; implicit-def: $vgpr8
                                        ; implicit-def: $vgpr7
                                        ; implicit-def: $vgpr9
                                        ; implicit-def: $sgpr1
                                        ; implicit-def: $sgpr20
	s_cbranch_scc0 .LBB3_18
; %bb.14:                               ;   in Loop: Header=BB3_9 Depth=1
	s_add_i32 s21, s17, s8
	s_mov_b32 s7, s4
	s_add_i32 s6, s21, s9
	s_mul_hi_u32 s1, s0, s12
	s_lshl_b64 s[6:7], s[6:7], 3
	s_mov_b32 s20, s10
	s_add_u32 s6, s18, s6
	s_addc_u32 s7, s19, s7
	s_add_i32 s1, s1, s0
	s_lshr_b32 s1, s1, s13
	s_mul_i32 s5, s1, s14
	s_cmp_eq_u32 s5, s0
	s_cselect_b32 s5, -1, 0
	s_cmp_lt_u32 s1, s11
	s_cselect_b32 s1, -1, 0
	s_or_b32 s1, s1, s5
	s_mov_b32 s5, -1
	s_and_b32 vcc_lo, exec_lo, s1
	s_mov_b32 s1, s17
	s_cbranch_vccnz .LBB3_16
; %bb.15:                               ;   in Loop: Header=BB3_9 Depth=1
	s_add_i32 s1, s17, -1
	s_mov_b32 s5, 0
	s_mov_b32 s20, s0
.LBB3_16:                               ;   in Loop: Header=BB3_9 Depth=1
	v_lshl_or_b32 v7, s21, 6, v0
	s_load_dwordx2 s[6:7], s[6:7], 0x0
	v_ashrrev_i32_e32 v8, 31, v7
	v_lshlrev_b64 v[7:8], 2, v[7:8]
	v_add_co_u32 v7, vcc_lo, s2, v7
	v_add_co_ci_u32_e64 v8, null, s15, v8, vcc_lo
	s_waitcnt lgkmcnt(0)
	v_max_f32_e64 v9, s6, s6
	global_load_dword v8, v[7:8], off
	v_max_f32_e32 v7, v6, v6
	v_max_f32_e32 v7, v7, v9
	v_sub_f32_e32 v9, s6, v7
	v_sub_f32_e32 v10, v6, v7
	v_mul_f32_e32 v11, 0x3fb8aa3b, v9
	v_mul_f32_e32 v12, 0x3fb8aa3b, v10
	v_cmp_ngt_f32_e32 vcc_lo, 0xc2ce8ed0, v9
	v_fma_f32 v13, 0x3fb8aa3b, v9, -v11
	v_rndne_f32_e32 v14, v11
	v_fma_f32 v15, 0x3fb8aa3b, v10, -v12
	v_rndne_f32_e32 v16, v12
	v_fmac_f32_e32 v13, 0x32a5705f, v9
	v_sub_f32_e32 v11, v11, v14
	v_fmac_f32_e32 v15, 0x32a5705f, v10
	v_sub_f32_e32 v12, v12, v16
	v_add_f32_e32 v11, v11, v13
	v_cvt_i32_f32_e32 v13, v14
	v_add_f32_e32 v12, v12, v15
	v_cvt_i32_f32_e32 v14, v16
	v_exp_f32_e32 v11, v11
	v_exp_f32_e32 v12, v12
	v_ldexp_f32 v11, v11, v13
	v_ldexp_f32 v12, v12, v14
	v_cndmask_b32_e32 v11, 0, v11, vcc_lo
	v_cmp_ngt_f32_e32 vcc_lo, 0xc2ce8ed0, v10
	v_cndmask_b32_e32 v12, 0, v12, vcc_lo
	v_cmp_nlt_f32_e32 vcc_lo, 0x42b17218, v9
	v_cndmask_b32_e32 v11, 0x7f800000, v11, vcc_lo
	v_cmp_nlt_f32_e32 vcc_lo, 0x42b17218, v10
	v_cndmask_b32_e32 v12, 0x7f800000, v12, vcc_lo
	v_cmp_le_f32_e32 vcc_lo, 0xc1a00000, v9
	v_cndmask_b32_e32 v9, 0, v11, vcc_lo
	v_cmp_le_f32_e32 vcc_lo, 0xc1a00000, v10
	v_cndmask_b32_e32 v10, 0, v12, vcc_lo
	s_waitcnt vmcnt(0)
	v_mul_f32_e32 v8, v8, v9
	v_mul_f32_e32 v9, s7, v9
	v_fmac_f32_e32 v8, v4, v10
	v_fmac_f32_e32 v9, v5, v10
	s_cbranch_execz .LBB3_19
.LBB3_17:                               ;   in Loop: Header=BB3_9 Depth=1
	s_andn2_b32 vcc_lo, exec_lo, s5
	s_cbranch_vccnz .LBB3_20
	s_branch .LBB3_23
.LBB3_18:                               ;   in Loop: Header=BB3_9 Depth=1
	s_andn2_b32 vcc_lo, exec_lo, s6
	s_cbranch_vccnz .LBB3_17
.LBB3_19:                               ;   in Loop: Header=BB3_9 Depth=1
	v_mov_b32_e32 v9, v5
	v_mov_b32_e32 v7, v6
	s_waitcnt vmcnt(0)
	v_mov_b32_e32 v8, v4
	s_add_i32 s1, s17, -1
	s_mov_b32 s20, s10
	s_cbranch_execz .LBB3_23
.LBB3_20:                               ;   in Loop: Header=BB3_9 Depth=1
	v_mov_b32_e32 v5, v9
	v_mov_b32_e32 v6, v7
	s_waitcnt vmcnt(0)
	v_mov_b32_e32 v4, v8
	s_mov_b32 s10, s20
	s_mov_b32 s17, s1
	s_branch .LBB3_9
.LBB3_21:
                                        ; implicit-def: $sgpr10_sgpr11
	s_load_dwordx4 s[12:15], s[4:5], 0x44
	s_branch .LBB3_2
.LBB3_22:
                                        ; implicit-def: $sgpr18_sgpr19
	s_branch .LBB3_5
.LBB3_23:
	v_div_scale_f32 v0, null, v9, v9, v8
	v_rcp_f32_e32 v3, v0
	s_waitcnt vmcnt(0)
	v_fma_f32 v4, -v0, v3, 1.0
	v_fmac_f32_e32 v3, v4, v3
	v_div_scale_f32 v4, vcc_lo, v8, v9, v8
	v_mul_f32_e32 v5, v4, v3
	v_fma_f32 v6, -v0, v5, v4
	v_fmac_f32_e32 v5, v6, v3
	v_fma_f32 v0, -v0, v5, v4
	v_div_fmas_f32 v0, v0, v3, v5
	v_div_fixup_f32 v0, v0, v9, v8
	global_store_dword v[1:2], v0, off
.LBB3_24:
	s_endpgm
	.section	.rodata,"a",@progbits
	.p2align	6, 0x0
	.amdhsa_kernel _ZL33flash_attn_stream_k_fixup_generalILi64ELi1ELi1EEvPfPK15HIP_vector_typeIfLj2EEiiiiS1_IjLj3EES5_S5_S5_
		.amdhsa_group_segment_fixed_size 0
		.amdhsa_private_segment_fixed_size 0
		.amdhsa_kernarg_size 336
		.amdhsa_user_sgpr_count 6
		.amdhsa_user_sgpr_private_segment_buffer 1
		.amdhsa_user_sgpr_dispatch_ptr 0
		.amdhsa_user_sgpr_queue_ptr 0
		.amdhsa_user_sgpr_kernarg_segment_ptr 1
		.amdhsa_user_sgpr_dispatch_id 0
		.amdhsa_user_sgpr_flat_scratch_init 0
		.amdhsa_user_sgpr_private_segment_size 0
		.amdhsa_wavefront_size32 1
		.amdhsa_uses_dynamic_stack 0
		.amdhsa_system_sgpr_private_segment_wavefront_offset 0
		.amdhsa_system_sgpr_workgroup_id_x 1
		.amdhsa_system_sgpr_workgroup_id_y 1
		.amdhsa_system_sgpr_workgroup_id_z 1
		.amdhsa_system_sgpr_workgroup_info 0
		.amdhsa_system_vgpr_workitem_id 0
		.amdhsa_next_free_vgpr 17
		.amdhsa_next_free_sgpr 31
		.amdhsa_reserve_vcc 1
		.amdhsa_reserve_flat_scratch 0
		.amdhsa_float_round_mode_32 0
		.amdhsa_float_round_mode_16_64 0
		.amdhsa_float_denorm_mode_32 3
		.amdhsa_float_denorm_mode_16_64 3
		.amdhsa_dx10_clamp 1
		.amdhsa_ieee_mode 1
		.amdhsa_fp16_overflow 0
		.amdhsa_workgroup_processor_mode 1
		.amdhsa_memory_ordered 1
		.amdhsa_forward_progress 1
		.amdhsa_shared_vgpr_count 0
		.amdhsa_exception_fp_ieee_invalid_op 0
		.amdhsa_exception_fp_denorm_src 0
		.amdhsa_exception_fp_ieee_div_zero 0
		.amdhsa_exception_fp_ieee_overflow 0
		.amdhsa_exception_fp_ieee_underflow 0
		.amdhsa_exception_fp_ieee_inexact 0
		.amdhsa_exception_int_div_zero 0
	.end_amdhsa_kernel
	.section	.text._ZL33flash_attn_stream_k_fixup_generalILi64ELi1ELi1EEvPfPK15HIP_vector_typeIfLj2EEiiiiS1_IjLj3EES5_S5_S5_,"axG",@progbits,_ZL33flash_attn_stream_k_fixup_generalILi64ELi1ELi1EEvPfPK15HIP_vector_typeIfLj2EEiiiiS1_IjLj3EES5_S5_S5_,comdat
.Lfunc_end3:
	.size	_ZL33flash_attn_stream_k_fixup_generalILi64ELi1ELi1EEvPfPK15HIP_vector_typeIfLj2EEiiiiS1_IjLj3EES5_S5_S5_, .Lfunc_end3-_ZL33flash_attn_stream_k_fixup_generalILi64ELi1ELi1EEvPfPK15HIP_vector_typeIfLj2EEiiiiS1_IjLj3EES5_S5_S5_
                                        ; -- End function
	.set _ZL33flash_attn_stream_k_fixup_generalILi64ELi1ELi1EEvPfPK15HIP_vector_typeIfLj2EEiiiiS1_IjLj3EES5_S5_S5_.num_vgpr, 17
	.set _ZL33flash_attn_stream_k_fixup_generalILi64ELi1ELi1EEvPfPK15HIP_vector_typeIfLj2EEiiiiS1_IjLj3EES5_S5_S5_.num_agpr, 0
	.set _ZL33flash_attn_stream_k_fixup_generalILi64ELi1ELi1EEvPfPK15HIP_vector_typeIfLj2EEiiiiS1_IjLj3EES5_S5_S5_.numbered_sgpr, 31
	.set _ZL33flash_attn_stream_k_fixup_generalILi64ELi1ELi1EEvPfPK15HIP_vector_typeIfLj2EEiiiiS1_IjLj3EES5_S5_S5_.num_named_barrier, 0
	.set _ZL33flash_attn_stream_k_fixup_generalILi64ELi1ELi1EEvPfPK15HIP_vector_typeIfLj2EEiiiiS1_IjLj3EES5_S5_S5_.private_seg_size, 0
	.set _ZL33flash_attn_stream_k_fixup_generalILi64ELi1ELi1EEvPfPK15HIP_vector_typeIfLj2EEiiiiS1_IjLj3EES5_S5_S5_.uses_vcc, 1
	.set _ZL33flash_attn_stream_k_fixup_generalILi64ELi1ELi1EEvPfPK15HIP_vector_typeIfLj2EEiiiiS1_IjLj3EES5_S5_S5_.uses_flat_scratch, 0
	.set _ZL33flash_attn_stream_k_fixup_generalILi64ELi1ELi1EEvPfPK15HIP_vector_typeIfLj2EEiiiiS1_IjLj3EES5_S5_S5_.has_dyn_sized_stack, 0
	.set _ZL33flash_attn_stream_k_fixup_generalILi64ELi1ELi1EEvPfPK15HIP_vector_typeIfLj2EEiiiiS1_IjLj3EES5_S5_S5_.has_recursion, 0
	.set _ZL33flash_attn_stream_k_fixup_generalILi64ELi1ELi1EEvPfPK15HIP_vector_typeIfLj2EEiiiiS1_IjLj3EES5_S5_S5_.has_indirect_call, 0
	.section	.AMDGPU.csdata,"",@progbits
; Kernel info:
; codeLenInByte = 2900
; TotalNumSgprs: 33
; NumVgprs: 17
; ScratchSize: 0
; MemoryBound: 0
; FloatMode: 240
; IeeeMode: 1
; LDSByteSize: 0 bytes/workgroup (compile time only)
; SGPRBlocks: 0
; VGPRBlocks: 2
; NumSGPRsForWavesPerEU: 33
; NumVGPRsForWavesPerEU: 17
; Occupancy: 16
; WaveLimiterHint : 0
; COMPUTE_PGM_RSRC2:SCRATCH_EN: 0
; COMPUTE_PGM_RSRC2:USER_SGPR: 6
; COMPUTE_PGM_RSRC2:TRAP_HANDLER: 0
; COMPUTE_PGM_RSRC2:TGID_X_EN: 1
; COMPUTE_PGM_RSRC2:TGID_Y_EN: 1
; COMPUTE_PGM_RSRC2:TGID_Z_EN: 1
; COMPUTE_PGM_RSRC2:TIDIG_COMP_CNT: 0
	.section	.text._ZL26flash_attn_combine_resultsILi64EEvPKfPK15HIP_vector_typeIfLj2EEPfi,"axG",@progbits,_ZL26flash_attn_combine_resultsILi64EEvPKfPK15HIP_vector_typeIfLj2EEPfi,comdat
	.globl	_ZL26flash_attn_combine_resultsILi64EEvPKfPK15HIP_vector_typeIfLj2EEPfi ; -- Begin function _ZL26flash_attn_combine_resultsILi64EEvPKfPK15HIP_vector_typeIfLj2EEPfi
	.p2align	8
	.type	_ZL26flash_attn_combine_resultsILi64EEvPKfPK15HIP_vector_typeIfLj2EEPfi,@function
_ZL26flash_attn_combine_resultsILi64EEvPKfPK15HIP_vector_typeIfLj2EEPfi: ; @_ZL26flash_attn_combine_resultsILi64EEvPKfPK15HIP_vector_typeIfLj2EEPfi
; %bb.0:
	s_clause 0x3
	s_load_dwordx2 s[2:3], s[4:5], 0x20
	s_load_dword s9, s[4:5], 0x18
	s_load_dwordx4 s[12:15], s[4:5], 0x0
	s_load_dwordx2 s[10:11], s[4:5], 0x10
	v_lshlrev_b32_e32 v5, 2, v0
	s_mov_b32 s4, exec_lo
	s_waitcnt lgkmcnt(0)
	s_mul_i32 s0, s2, s8
	s_lshl_b32 s1, s9, 1
	s_add_i32 s0, s0, s6
	s_mul_i32 s6, s0, s3
	s_add_i32 s6, s6, s7
	s_mul_i32 s2, s6, s9
	v_cmpx_gt_i32_e64 s1, v0
	s_cbranch_execz .LBB4_3
; %bb.1:
	s_ashr_i32 s3, s2, 31
	v_add_nc_u32_e32 v3, 0, v5
	s_lshl_b64 s[16:17], s[2:3], 3
	v_mov_b32_e32 v4, v0
	s_add_u32 s0, s14, s16
	s_addc_u32 s3, s15, s17
	v_add_co_u32 v1, s0, s0, v5
	v_add_co_ci_u32_e64 v2, null, s3, 0, s0
	s_mov_b32 s3, 0
	.p2align	6
.LBB4_2:                                ; =>This Inner Loop Header: Depth=1
	global_load_dword v6, v[1:2], off
	v_add_nc_u32_e32 v4, 64, v4
	v_add_co_u32 v1, vcc_lo, 0x100, v1
	v_add_co_ci_u32_e64 v2, null, 0, v2, vcc_lo
	v_cmp_le_i32_e64 s0, s1, v4
	s_or_b32 s3, s0, s3
	s_waitcnt vmcnt(0)
	ds_write_b32 v3, v6
	v_add_nc_u32_e32 v3, 0x100, v3
	s_andn2_b32 exec_lo, exec_lo, s3
	s_cbranch_execnz .LBB4_2
.LBB4_3:
	s_or_b32 exec_lo, exec_lo, s4
	v_mov_b32_e32 v1, 0
	s_waitcnt lgkmcnt(0)
	s_barrier
	buffer_gl0_inv
	s_cmp_lt_i32 s9, 2
	ds_read_b32 v6, v1
	s_cbranch_scc1 .LBB4_11
; %bb.4:
	s_add_i32 s1, s9, -2
	s_add_i32 s0, s9, -1
	s_cmp_lt_u32 s1, 7
	s_cbranch_scc1 .LBB4_8
; %bb.5:
	s_mov_b32 s3, 0
	s_add_i32 s1, 0, 8
	s_and_b32 s4, s0, -8
	.p2align	6
.LBB4_6:                                ; =>This Inner Loop Header: Depth=1
	v_mov_b32_e32 v9, s1
	s_mov_b32 s5, s3
	s_add_i32 s3, s3, 8
	s_add_i32 s1, s1, 64
	s_cmp_eq_u32 s4, s3
	ds_read2_b32 v[1:2], v9 offset1:2
	ds_read2_b32 v[3:4], v9 offset0:4 offset1:6
	ds_read2_b32 v[7:8], v9 offset0:8 offset1:10
	;; [unrolled: 1-line block ×3, first 2 shown]
	s_waitcnt lgkmcnt(3)
	v_max3_f32 v1, v6, v1, v2
	s_waitcnt lgkmcnt(2)
	v_max3_f32 v1, v1, v3, v4
	;; [unrolled: 2-line block ×4, first 2 shown]
	s_cbranch_scc0 .LBB4_6
; %bb.7:
	s_add_i32 s1, s5, 9
	s_and_b32 s0, s0, 7
	s_cmp_eq_u32 s0, 0
	s_cbranch_scc0 .LBB4_9
	s_branch .LBB4_11
.LBB4_8:
	s_mov_b32 s1, 1
	s_and_b32 s0, s0, 7
	s_cmp_eq_u32 s0, 0
	s_cbranch_scc1 .LBB4_11
.LBB4_9:
	s_lshl_b32 s1, s1, 3
	s_add_i32 s1, s1, 0
.LBB4_10:                               ; =>This Inner Loop Header: Depth=1
	v_mov_b32_e32 v1, s1
	s_waitcnt lgkmcnt(0)
	v_max_f32_e32 v2, v6, v6
	s_add_i32 s0, s0, -1
	s_add_i32 s1, s1, 8
	s_cmp_lg_u32 s0, 0
	ds_read_b32 v1, v1
	s_waitcnt lgkmcnt(0)
	v_max_f32_e32 v1, v1, v1
	v_max_f32_e32 v6, v2, v1
	s_cbranch_scc1 .LBB4_10
.LBB4_11:
	s_cmp_lt_i32 s9, 1
	s_cbranch_scc1 .LBB4_16
; %bb.12:
	s_lshl_b32 s0, s2, 6
	s_ashr_i32 s1, s0, 31
	s_lshl_b64 s[0:1], s[0:1], 2
	s_add_u32 s7, s12, s0
	s_addc_u32 s8, s13, s1
	s_cmp_lt_u32 s9, 8
	s_cbranch_scc1 .LBB4_17
; %bb.13:
	v_or_b32_e32 v1, 0x1c0, v0
	v_mov_b32_e32 v4, 0
	v_mov_b32_e32 v7, 0
	;; [unrolled: 1-line block ×3, first 2 shown]
	s_and_b32 s12, s9, 0x7ffffff8
	s_mov_b32 s13, 0
	s_mov_b32 s14, 0
.LBB4_14:                               ; =>This Inner Loop Header: Depth=1
	v_add_nc_u32_e32 v3, 0xfffffe40, v1
	v_mov_b32_e32 v2, v4
	v_mov_b32_e32 v21, s14
	s_add_i32 s13, s13, 8
	s_add_i32 s14, s14, 64
	v_lshlrev_b64 v[9:10], 2, v[3:4]
	v_add_nc_u32_e32 v3, 0xfffffe80, v1
	v_lshlrev_b64 v[11:12], 2, v[1:2]
	s_cmp_eq_u32 s12, s13
	v_lshlrev_b64 v[13:14], 2, v[3:4]
	v_add_nc_u32_e32 v3, 0xfffffec0, v1
	v_add_co_u32 v9, vcc_lo, s7, v9
	v_add_co_ci_u32_e64 v10, null, s8, v10, vcc_lo
	v_add_co_u32 v13, vcc_lo, s7, v13
	v_lshlrev_b64 v[15:16], 2, v[3:4]
	v_add_nc_u32_e32 v3, 0xffffff00, v1
	v_add_co_ci_u32_e64 v14, null, s8, v14, vcc_lo
	s_clause 0x1
	global_load_dword v25, v[9:10], off
	global_load_dword v26, v[13:14], off
	v_lshlrev_b64 v[9:10], 2, v[3:4]
	v_add_nc_u32_e32 v3, 0xffffff40, v1
	v_add_co_u32 v13, vcc_lo, s7, v15
	v_add_co_ci_u32_e64 v14, null, s8, v16, vcc_lo
	v_add_co_u32 v9, vcc_lo, s7, v9
	v_lshlrev_b64 v[15:16], 2, v[3:4]
	v_add_nc_u32_e32 v3, 0xffffff80, v1
	v_add_co_ci_u32_e64 v10, null, s8, v10, vcc_lo
	s_clause 0x1
	global_load_dword v27, v[13:14], off
	global_load_dword v28, v[9:10], off
	v_lshlrev_b64 v[13:14], 2, v[3:4]
	v_subrev_nc_u32_e32 v3, 64, v1
	v_add_co_u32 v9, vcc_lo, s7, v15
	v_add_co_ci_u32_e64 v10, null, s8, v16, vcc_lo
	v_add_co_u32 v13, vcc_lo, s7, v13
	v_lshlrev_b64 v[2:3], 2, v[3:4]
	v_add_co_ci_u32_e64 v14, null, s8, v14, vcc_lo
	s_clause 0x1
	global_load_dword v29, v[9:10], off
	global_load_dword v30, v[13:14], off
	v_add_co_u32 v2, vcc_lo, s7, v2
	v_add_co_ci_u32_e64 v3, null, s8, v3, vcc_lo
	v_add_co_u32 v9, vcc_lo, s7, v11
	v_add_co_ci_u32_e64 v10, null, s8, v12, vcc_lo
	s_clause 0x1
	global_load_dword v2, v[2:3], off
	global_load_dword v3, v[9:10], off
	ds_read2_b64 v[9:12], v21 offset1:1
	ds_read2_b64 v[13:16], v21 offset0:2 offset1:3
	ds_read2_b64 v[17:20], v21 offset0:4 offset1:5
	;; [unrolled: 1-line block ×3, first 2 shown]
	v_add_nc_u32_e32 v1, 0x200, v1
	s_waitcnt lgkmcnt(3)
	v_sub_f32_e32 v9, v9, v6
	v_sub_f32_e32 v11, v11, v6
	s_waitcnt lgkmcnt(2)
	v_sub_f32_e32 v13, v13, v6
	v_sub_f32_e32 v15, v15, v6
	s_waitcnt lgkmcnt(1)
	v_sub_f32_e32 v17, v17, v6
	v_mul_f32_e32 v31, 0x3fb8aa3b, v9
	v_mul_f32_e32 v32, 0x3fb8aa3b, v11
	;; [unrolled: 1-line block ×4, first 2 shown]
	v_sub_f32_e32 v19, v19, v6
	v_fma_f32 v39, 0x3fb8aa3b, v9, -v31
	v_rndne_f32_e32 v40, v31
	v_fma_f32 v41, 0x3fb8aa3b, v11, -v32
	v_rndne_f32_e32 v42, v32
	v_fma_f32 v43, 0x3fb8aa3b, v13, -v33
	v_fmac_f32_e32 v39, 0x32a5705f, v9
	v_sub_f32_e32 v31, v31, v40
	v_rndne_f32_e32 v44, v33
	v_fmac_f32_e32 v41, 0x32a5705f, v11
	v_sub_f32_e32 v32, v32, v42
	v_fmac_f32_e32 v43, 0x32a5705f, v13
	v_add_f32_e32 v31, v31, v39
	v_sub_f32_e32 v33, v33, v44
	v_mul_f32_e32 v35, 0x3fb8aa3b, v17
	v_add_f32_e32 v32, v32, v41
	v_fma_f32 v45, 0x3fb8aa3b, v15, -v34
	v_exp_f32_e32 v31, v31
	v_rndne_f32_e32 v46, v34
	v_add_f32_e32 v33, v33, v43
	v_cvt_i32_f32_e32 v40, v40
	v_exp_f32_e32 v32, v32
	s_waitcnt lgkmcnt(0)
	v_sub_f32_e32 v21, v21, v6
	v_mul_f32_e32 v36, 0x3fb8aa3b, v19
	v_fma_f32 v47, 0x3fb8aa3b, v17, -v35
	v_rndne_f32_e32 v48, v35
	v_cvt_i32_f32_e32 v42, v42
	v_fmac_f32_e32 v45, 0x32a5705f, v15
	v_sub_f32_e32 v34, v34, v46
	v_exp_f32_e32 v33, v33
	v_ldexp_f32 v31, v31, v40
	v_cmp_ngt_f32_e64 s5, 0xc2ce8ed0, v9
	v_sub_f32_e32 v23, v23, v6
	v_mul_f32_e32 v37, 0x3fb8aa3b, v21
	v_fma_f32 v49, 0x3fb8aa3b, v19, -v36
	v_rndne_f32_e32 v50, v36
	v_cvt_i32_f32_e32 v44, v44
	v_fmac_f32_e32 v47, 0x32a5705f, v17
	v_sub_f32_e32 v35, v35, v48
	v_add_f32_e32 v34, v34, v45
	v_ldexp_f32 v32, v32, v42
	v_cndmask_b32_e64 v31, 0, v31, s5
	v_cmp_ngt_f32_e64 s5, 0xc2ce8ed0, v11
	v_mul_f32_e32 v38, 0x3fb8aa3b, v23
	v_fma_f32 v51, 0x3fb8aa3b, v21, -v37
	v_rndne_f32_e32 v39, v37
	v_fmac_f32_e32 v49, 0x32a5705f, v19
	v_sub_f32_e32 v36, v36, v50
	v_add_f32_e32 v35, v35, v47
	v_exp_f32_e32 v34, v34
	v_ldexp_f32 v33, v33, v44
	v_cmp_ngt_f32_e32 vcc_lo, 0xc2ce8ed0, v13
	v_cndmask_b32_e64 v32, 0, v32, s5
	v_cmp_nlt_f32_e64 s5, 0x42b17218, v9
	v_fma_f32 v41, 0x3fb8aa3b, v23, -v38
	v_rndne_f32_e32 v43, v38
	v_cvt_i32_f32_e32 v46, v46
	v_fmac_f32_e32 v51, 0x32a5705f, v21
	v_sub_f32_e32 v37, v37, v39
	v_add_f32_e32 v36, v36, v49
	v_exp_f32_e32 v35, v35
	v_cndmask_b32_e64 v9, 0x7f800000, v31, s5
	v_cndmask_b32_e32 v31, 0, v33, vcc_lo
	v_cmp_nlt_f32_e32 vcc_lo, 0x42b17218, v11
	v_cvt_i32_f32_e32 v48, v48
	v_fmac_f32_e32 v41, 0x32a5705f, v23
	v_sub_f32_e32 v38, v38, v43
	v_add_f32_e32 v37, v37, v51
	v_exp_f32_e32 v36, v36
	v_ldexp_f32 v34, v34, v46
	v_cmp_ngt_f32_e64 s0, 0xc2ce8ed0, v15
	v_cndmask_b32_e32 v11, 0x7f800000, v32, vcc_lo
	v_fmac_f32_e32 v8, v9, v10
	v_cmp_nlt_f32_e32 vcc_lo, 0x42b17218, v13
	v_cvt_i32_f32_e32 v50, v50
	v_add_f32_e32 v38, v38, v41
	v_exp_f32_e32 v37, v37
	v_ldexp_f32 v35, v35, v48
	v_cmp_ngt_f32_e64 s1, 0xc2ce8ed0, v17
	v_cndmask_b32_e32 v10, 0x7f800000, v31, vcc_lo
	v_fmac_f32_e32 v8, v11, v12
	v_cmp_nlt_f32_e32 vcc_lo, 0x42b17218, v15
	v_cvt_i32_f32_e32 v39, v39
	v_exp_f32_e32 v38, v38
	v_ldexp_f32 v36, v36, v50
	v_cmp_ngt_f32_e64 s2, 0xc2ce8ed0, v19
	v_fmac_f32_e32 v8, v10, v14
	v_cvt_i32_f32_e32 v43, v43
	v_ldexp_f32 v37, v37, v39
	v_cmp_ngt_f32_e64 s3, 0xc2ce8ed0, v21
	v_cmp_ngt_f32_e64 s4, 0xc2ce8ed0, v23
	v_ldexp_f32 v38, v38, v43
	s_waitcnt vmcnt(7)
	v_fmac_f32_e32 v7, v25, v9
	v_cndmask_b32_e64 v9, 0, v34, s0
	s_waitcnt vmcnt(6)
	v_fmac_f32_e32 v7, v26, v11
	v_cndmask_b32_e64 v11, 0, v35, s1
	v_cndmask_b32_e32 v9, 0x7f800000, v9, vcc_lo
	v_cmp_nlt_f32_e32 vcc_lo, 0x42b17218, v17
	v_fmac_f32_e32 v8, v9, v16
	v_cndmask_b32_e32 v11, 0x7f800000, v11, vcc_lo
	v_cmp_nlt_f32_e32 vcc_lo, 0x42b17218, v19
	s_waitcnt vmcnt(5)
	v_fmac_f32_e32 v7, v27, v10
	v_cndmask_b32_e64 v10, 0, v36, s2
	v_fmac_f32_e32 v8, v11, v18
	s_waitcnt vmcnt(4)
	v_fmac_f32_e32 v7, v28, v9
	v_cndmask_b32_e64 v9, 0, v37, s3
	v_cndmask_b32_e32 v10, 0x7f800000, v10, vcc_lo
	v_cmp_nlt_f32_e32 vcc_lo, 0x42b17218, v21
	v_fmac_f32_e32 v8, v10, v20
	v_cndmask_b32_e32 v9, 0x7f800000, v9, vcc_lo
	v_cmp_nlt_f32_e32 vcc_lo, 0x42b17218, v23
	s_waitcnt vmcnt(3)
	v_fmac_f32_e32 v7, v29, v11
	v_cndmask_b32_e64 v11, 0, v38, s4
	v_fmac_f32_e32 v8, v9, v22
	s_waitcnt vmcnt(2)
	v_fmac_f32_e32 v7, v30, v10
	v_cndmask_b32_e32 v10, 0x7f800000, v11, vcc_lo
	s_waitcnt vmcnt(1)
	v_fmac_f32_e32 v7, v2, v9
	v_fmac_f32_e32 v8, v10, v24
	s_waitcnt vmcnt(0)
	v_fmac_f32_e32 v7, v3, v10
	s_cbranch_scc0 .LBB4_14
; %bb.15:
	s_and_b32 s0, s9, 7
	s_cmp_eq_u32 s0, 0
	s_cbranch_scc0 .LBB4_18
	s_branch .LBB4_20
.LBB4_16:
	v_mov_b32_e32 v0, 0x7fc00000
	s_branch .LBB4_21
.LBB4_17:
	v_mov_b32_e32 v7, 0
	v_mov_b32_e32 v8, 0
	s_mov_b32 s12, 0
	s_and_b32 s0, s9, 7
	s_cmp_eq_u32 s0, 0
	s_cbranch_scc1 .LBB4_20
.LBB4_18:
	v_lshl_or_b32 v0, s12, 6, v0
	v_mov_b32_e32 v1, 0
	s_lshl_b32 s1, s12, 3
	s_add_i32 s1, s1, 0
	s_inst_prefetch 0x1
	.p2align	6
.LBB4_19:                               ; =>This Inner Loop Header: Depth=1
	v_lshlrev_b64 v[2:3], 2, v[0:1]
	v_add_nc_u32_e32 v0, 64, v0
	s_add_i32 s0, s0, -1
	v_add_co_u32 v2, vcc_lo, s7, v2
	v_add_co_ci_u32_e64 v3, null, s8, v3, vcc_lo
	global_load_dword v4, v[2:3], off
	v_mov_b32_e32 v2, s1
	s_add_i32 s1, s1, 8
	s_cmp_lg_u32 s0, 0
	ds_read_b64 v[2:3], v2
	s_waitcnt lgkmcnt(0)
	v_sub_f32_e32 v2, v2, v6
	v_mul_f32_e32 v9, 0x3fb8aa3b, v2
	v_cmp_ngt_f32_e32 vcc_lo, 0xc2ce8ed0, v2
	v_fma_f32 v10, 0x3fb8aa3b, v2, -v9
	v_rndne_f32_e32 v11, v9
	v_fmac_f32_e32 v10, 0x32a5705f, v2
	v_sub_f32_e32 v9, v9, v11
	v_add_f32_e32 v9, v9, v10
	v_cvt_i32_f32_e32 v10, v11
	v_exp_f32_e32 v9, v9
	v_ldexp_f32 v9, v9, v10
	v_cndmask_b32_e32 v9, 0, v9, vcc_lo
	v_cmp_nlt_f32_e32 vcc_lo, 0x42b17218, v2
	v_cndmask_b32_e32 v2, 0x7f800000, v9, vcc_lo
	v_fmac_f32_e32 v8, v2, v3
	s_waitcnt vmcnt(0)
	v_fmac_f32_e32 v7, v4, v2
	s_cbranch_scc1 .LBB4_19
.LBB4_20:
	s_inst_prefetch 0x2
	v_div_scale_f32 v0, null, v8, v8, v7
	v_rcp_f32_e32 v1, v0
	v_fma_f32 v2, -v0, v1, 1.0
	v_fmac_f32_e32 v1, v2, v1
	v_div_scale_f32 v2, vcc_lo, v7, v8, v7
	v_mul_f32_e32 v3, v2, v1
	v_fma_f32 v4, -v0, v3, v2
	v_fmac_f32_e32 v3, v4, v1
	v_fma_f32 v0, -v0, v3, v2
	v_div_fmas_f32 v0, v0, v1, v3
	v_div_fixup_f32 v0, v0, v8, v7
.LBB4_21:
	s_lshl_b32 s0, s6, 6
	s_ashr_i32 s1, s0, 31
	s_lshl_b64 s[0:1], s[0:1], 2
	s_add_u32 s0, s10, s0
	s_addc_u32 s1, s11, s1
	global_store_dword v5, v0, s[0:1]
	s_endpgm
	.section	.rodata,"a",@progbits
	.p2align	6, 0x0
	.amdhsa_kernel _ZL26flash_attn_combine_resultsILi64EEvPKfPK15HIP_vector_typeIfLj2EEPfi
		.amdhsa_group_segment_fixed_size 0
		.amdhsa_private_segment_fixed_size 0
		.amdhsa_kernarg_size 288
		.amdhsa_user_sgpr_count 6
		.amdhsa_user_sgpr_private_segment_buffer 1
		.amdhsa_user_sgpr_dispatch_ptr 0
		.amdhsa_user_sgpr_queue_ptr 0
		.amdhsa_user_sgpr_kernarg_segment_ptr 1
		.amdhsa_user_sgpr_dispatch_id 0
		.amdhsa_user_sgpr_flat_scratch_init 0
		.amdhsa_user_sgpr_private_segment_size 0
		.amdhsa_wavefront_size32 1
		.amdhsa_uses_dynamic_stack 0
		.amdhsa_system_sgpr_private_segment_wavefront_offset 0
		.amdhsa_system_sgpr_workgroup_id_x 1
		.amdhsa_system_sgpr_workgroup_id_y 1
		.amdhsa_system_sgpr_workgroup_id_z 1
		.amdhsa_system_sgpr_workgroup_info 0
		.amdhsa_system_vgpr_workitem_id 0
		.amdhsa_next_free_vgpr 52
		.amdhsa_next_free_sgpr 18
		.amdhsa_reserve_vcc 1
		.amdhsa_reserve_flat_scratch 0
		.amdhsa_float_round_mode_32 0
		.amdhsa_float_round_mode_16_64 0
		.amdhsa_float_denorm_mode_32 3
		.amdhsa_float_denorm_mode_16_64 3
		.amdhsa_dx10_clamp 1
		.amdhsa_ieee_mode 1
		.amdhsa_fp16_overflow 0
		.amdhsa_workgroup_processor_mode 1
		.amdhsa_memory_ordered 1
		.amdhsa_forward_progress 1
		.amdhsa_shared_vgpr_count 0
		.amdhsa_exception_fp_ieee_invalid_op 0
		.amdhsa_exception_fp_denorm_src 0
		.amdhsa_exception_fp_ieee_div_zero 0
		.amdhsa_exception_fp_ieee_overflow 0
		.amdhsa_exception_fp_ieee_underflow 0
		.amdhsa_exception_fp_ieee_inexact 0
		.amdhsa_exception_int_div_zero 0
	.end_amdhsa_kernel
	.section	.text._ZL26flash_attn_combine_resultsILi64EEvPKfPK15HIP_vector_typeIfLj2EEPfi,"axG",@progbits,_ZL26flash_attn_combine_resultsILi64EEvPKfPK15HIP_vector_typeIfLj2EEPfi,comdat
.Lfunc_end4:
	.size	_ZL26flash_attn_combine_resultsILi64EEvPKfPK15HIP_vector_typeIfLj2EEPfi, .Lfunc_end4-_ZL26flash_attn_combine_resultsILi64EEvPKfPK15HIP_vector_typeIfLj2EEPfi
                                        ; -- End function
	.set _ZL26flash_attn_combine_resultsILi64EEvPKfPK15HIP_vector_typeIfLj2EEPfi.num_vgpr, 52
	.set _ZL26flash_attn_combine_resultsILi64EEvPKfPK15HIP_vector_typeIfLj2EEPfi.num_agpr, 0
	.set _ZL26flash_attn_combine_resultsILi64EEvPKfPK15HIP_vector_typeIfLj2EEPfi.numbered_sgpr, 18
	.set _ZL26flash_attn_combine_resultsILi64EEvPKfPK15HIP_vector_typeIfLj2EEPfi.num_named_barrier, 0
	.set _ZL26flash_attn_combine_resultsILi64EEvPKfPK15HIP_vector_typeIfLj2EEPfi.private_seg_size, 0
	.set _ZL26flash_attn_combine_resultsILi64EEvPKfPK15HIP_vector_typeIfLj2EEPfi.uses_vcc, 1
	.set _ZL26flash_attn_combine_resultsILi64EEvPKfPK15HIP_vector_typeIfLj2EEPfi.uses_flat_scratch, 0
	.set _ZL26flash_attn_combine_resultsILi64EEvPKfPK15HIP_vector_typeIfLj2EEPfi.has_dyn_sized_stack, 0
	.set _ZL26flash_attn_combine_resultsILi64EEvPKfPK15HIP_vector_typeIfLj2EEPfi.has_recursion, 0
	.set _ZL26flash_attn_combine_resultsILi64EEvPKfPK15HIP_vector_typeIfLj2EEPfi.has_indirect_call, 0
	.section	.AMDGPU.csdata,"",@progbits
; Kernel info:
; codeLenInByte = 2260
; TotalNumSgprs: 20
; NumVgprs: 52
; ScratchSize: 0
; MemoryBound: 0
; FloatMode: 240
; IeeeMode: 1
; LDSByteSize: 0 bytes/workgroup (compile time only)
; SGPRBlocks: 0
; VGPRBlocks: 6
; NumSGPRsForWavesPerEU: 20
; NumVGPRsForWavesPerEU: 52
; Occupancy: 16
; WaveLimiterHint : 0
; COMPUTE_PGM_RSRC2:SCRATCH_EN: 0
; COMPUTE_PGM_RSRC2:USER_SGPR: 6
; COMPUTE_PGM_RSRC2:TRAP_HANDLER: 0
; COMPUTE_PGM_RSRC2:TGID_X_EN: 1
; COMPUTE_PGM_RSRC2:TGID_Y_EN: 1
; COMPUTE_PGM_RSRC2:TGID_Z_EN: 1
; COMPUTE_PGM_RSRC2:TIDIG_COMP_CNT: 0
	.text
	.p2align	2                               ; -- Begin function __ockl_printf_append_string_n
	.type	__ockl_printf_append_string_n,@function
__ockl_printf_append_string_n:          ; @__ockl_printf_append_string_n
; %bb.0:
	s_waitcnt vmcnt(0) expcnt(0) lgkmcnt(0)
	v_mov_b32_e32 v3, v0
	v_mbcnt_lo_u32_b32 v36, -1, 0
	s_getpc_b64 s[4:5]
	s_add_u32 s4, s4, __FUNCTION__._ZL18flash_attn_ext_vecILi64ELi1EL9ggml_type2ELS0_2ELb1EEvPKcS2_S2_S2_S2_PKiPfP15HIP_vector_typeIfLj2EEffffjfiS6_IjLj3EEiiiiiiiiiiiliiliiiiil@rel32@lo+4
	s_addc_u32 s5, s5, __FUNCTION__._ZL18flash_attn_ext_vecILi64ELi1EL9ggml_type2ELS0_2ELb1EEvPKcS2_S2_S2_S2_PKiPfP15HIP_vector_typeIfLj2EEffffjfiS6_IjLj3EEiiiiiiiiiiiliiliiiiil@rel32@hi+12
	s_cmp_lg_u64 s[4:5], 0
	s_cbranch_scc0 .LBB5_87
; %bb.1:
	s_load_dwordx2 s[6:7], s[8:9], 0x50
	v_and_b32_e32 v0, -3, v3
	s_getpc_b64 s[4:5]
	s_add_u32 s4, s4, __FUNCTION__._ZL18flash_attn_ext_vecILi64ELi1EL9ggml_type2ELS0_2ELb1EEvPKcS2_S2_S2_S2_PKiPfP15HIP_vector_typeIfLj2EEffffjfiS6_IjLj3EEiiiiiiiiiiiliiliiiiil@rel32@lo+4
	s_addc_u32 s5, s5, __FUNCTION__._ZL18flash_attn_ext_vecILi64ELi1EL9ggml_type2ELS0_2ELb1EEvPKcS2_S2_S2_S2_PKiPfP15HIP_vector_typeIfLj2EEffffjfiS6_IjLj3EEiiiiiiiiiiiliiliiiiil@rel32@hi+12
	v_mov_b32_e32 v7, v1
	v_mov_b32_e32 v31, s5
	v_and_b32_e32 v2, 2, v3
	v_mov_b32_e32 v11, 0
	v_mov_b32_e32 v30, s4
	;; [unrolled: 1-line block ×5, first 2 shown]
	s_mov_b32 s15, 0
	s_mov_b32 s14, 0
	s_branch .LBB5_3
.LBB5_2:                                ;   in Loop: Header=BB5_3 Depth=1
	s_or_b32 exec_lo, exec_lo, s12
	v_sub_co_u32 v4, vcc_lo, v4, v32
	v_sub_co_ci_u32_e64 v5, null, v5, v33, vcc_lo
	v_add_co_u32 v30, s4, v30, v32
	v_add_co_ci_u32_e64 v31, null, v31, v33, s4
	v_cmp_eq_u64_e32 vcc_lo, 0, v[4:5]
	s_or_b32 s14, vcc_lo, s14
	s_andn2_b32 exec_lo, exec_lo, s14
	s_cbranch_execz .LBB5_85
.LBB5_3:                                ; =>This Loop Header: Depth=1
                                        ;     Child Loop BB5_6 Depth 2
                                        ;     Child Loop BB5_14 Depth 2
	;; [unrolled: 1-line block ×11, first 2 shown]
	v_cmp_gt_u64_e32 vcc_lo, 56, v[4:5]
	s_mov_b32 s5, exec_lo
	v_cndmask_b32_e32 v33, 0, v5, vcc_lo
	v_cndmask_b32_e32 v32, 56, v4, vcc_lo
	v_add_co_u32 v16, vcc_lo, v30, 8
	v_add_co_ci_u32_e64 v17, null, 0, v31, vcc_lo
	v_cmpx_gt_u64_e32 8, v[4:5]
	s_xor_b32 s5, exec_lo, s5
	s_cbranch_execz .LBB5_9
; %bb.4:                                ;   in Loop: Header=BB5_3 Depth=1
	v_mov_b32_e32 v8, 0
	v_mov_b32_e32 v9, 0
	s_mov_b32 s12, exec_lo
	v_cmpx_ne_u64_e32 0, v[4:5]
	s_cbranch_execz .LBB5_8
; %bb.5:                                ;   in Loop: Header=BB5_3 Depth=1
	v_lshlrev_b64 v[14:15], 3, v[32:33]
	v_mov_b32_e32 v8, 0
	v_mov_b32_e32 v15, v30
	;; [unrolled: 1-line block ×4, first 2 shown]
	s_mov_b64 s[10:11], 0
	s_mov_b32 s13, 0
	.p2align	6
.LBB5_6:                                ;   Parent Loop BB5_3 Depth=1
                                        ; =>  This Inner Loop Header: Depth=2
	global_load_ubyte v0, v[15:16], off
	v_mov_b32_e32 v18, s15
	v_add_co_u32 v15, vcc_lo, v15, 1
	v_add_co_ci_u32_e64 v16, null, 0, v16, vcc_lo
	s_waitcnt vmcnt(0)
	v_and_b32_e32 v17, 0xffff, v0
	v_lshlrev_b64 v[17:18], s10, v[17:18]
	s_add_u32 s10, s10, 8
	s_addc_u32 s11, s11, 0
	v_cmp_eq_u32_e64 s4, s10, v14
	v_or_b32_e32 v9, v18, v9
	v_or_b32_e32 v8, v17, v8
	s_or_b32 s13, s4, s13
	s_andn2_b32 exec_lo, exec_lo, s13
	s_cbranch_execnz .LBB5_6
; %bb.7:                                ;   in Loop: Header=BB5_3 Depth=1
	s_or_b32 exec_lo, exec_lo, s13
.LBB5_8:                                ;   in Loop: Header=BB5_3 Depth=1
	s_or_b32 exec_lo, exec_lo, s12
	v_mov_b32_e32 v16, v30
	v_mov_b32_e32 v17, v31
.LBB5_9:                                ;   in Loop: Header=BB5_3 Depth=1
	s_or_saveexec_b32 s4, s5
	v_mov_b32_e32 v0, 0
	s_xor_b32 exec_lo, exec_lo, s4
	s_cbranch_execz .LBB5_11
; %bb.10:                               ;   in Loop: Header=BB5_3 Depth=1
	global_load_dwordx2 v[8:9], v[30:31], off
	v_add_nc_u32_e32 v0, -8, v32
.LBB5_11:                               ;   in Loop: Header=BB5_3 Depth=1
	s_or_b32 exec_lo, exec_lo, s4
	v_add_co_u32 v18, s4, v16, 8
	v_add_co_ci_u32_e64 v19, null, 0, v17, s4
                                        ; implicit-def: $vgpr14_vgpr15
	s_mov_b32 s4, exec_lo
	v_cmpx_gt_u32_e32 8, v0
	s_xor_b32 s12, exec_lo, s4
	s_cbranch_execz .LBB5_17
; %bb.12:                               ;   in Loop: Header=BB5_3 Depth=1
	v_mov_b32_e32 v14, 0
	v_mov_b32_e32 v15, 0
	s_mov_b32 s13, exec_lo
	v_cmpx_ne_u32_e32 0, v0
	s_cbranch_execz .LBB5_16
; %bb.13:                               ;   in Loop: Header=BB5_3 Depth=1
	v_mov_b32_e32 v14, 0
	v_mov_b32_e32 v15, 0
	s_mov_b64 s[4:5], 0
	s_mov_b32 s16, 0
	s_mov_b64 s[10:11], 0
	.p2align	6
.LBB5_14:                               ;   Parent Loop BB5_3 Depth=1
                                        ; =>  This Inner Loop Header: Depth=2
	v_add_co_u32 v18, vcc_lo, v16, s10
	v_add_co_ci_u32_e64 v19, null, s11, v17, vcc_lo
	s_add_u32 s10, s10, 1
	s_addc_u32 s11, s11, 0
	v_cmp_eq_u32_e32 vcc_lo, s10, v0
	global_load_ubyte v10, v[18:19], off
	v_mov_b32_e32 v19, s15
	s_waitcnt vmcnt(0)
	v_and_b32_e32 v18, 0xffff, v10
	v_lshlrev_b64 v[18:19], s4, v[18:19]
	s_add_u32 s4, s4, 8
	s_addc_u32 s5, s5, 0
	s_or_b32 s16, vcc_lo, s16
	v_or_b32_e32 v15, v19, v15
	v_or_b32_e32 v14, v18, v14
	s_andn2_b32 exec_lo, exec_lo, s16
	s_cbranch_execnz .LBB5_14
; %bb.15:                               ;   in Loop: Header=BB5_3 Depth=1
	s_or_b32 exec_lo, exec_lo, s16
.LBB5_16:                               ;   in Loop: Header=BB5_3 Depth=1
	s_or_b32 exec_lo, exec_lo, s13
	v_mov_b32_e32 v19, v17
	v_mov_b32_e32 v18, v16
                                        ; implicit-def: $vgpr0
.LBB5_17:                               ;   in Loop: Header=BB5_3 Depth=1
	s_or_saveexec_b32 s4, s12
	v_mov_b32_e32 v10, 0
	s_xor_b32 exec_lo, exec_lo, s4
	s_cbranch_execz .LBB5_19
; %bb.18:                               ;   in Loop: Header=BB5_3 Depth=1
	global_load_dwordx2 v[14:15], v[16:17], off
	v_add_nc_u32_e32 v10, -8, v0
.LBB5_19:                               ;   in Loop: Header=BB5_3 Depth=1
	s_or_b32 exec_lo, exec_lo, s4
	v_add_co_u32 v20, s4, v18, 8
	v_add_co_ci_u32_e64 v21, null, 0, v19, s4
	s_mov_b32 s4, exec_lo
	v_cmpx_gt_u32_e32 8, v10
	s_xor_b32 s12, exec_lo, s4
	s_cbranch_execz .LBB5_25
; %bb.20:                               ;   in Loop: Header=BB5_3 Depth=1
	v_mov_b32_e32 v16, 0
	v_mov_b32_e32 v17, 0
	s_mov_b32 s13, exec_lo
	v_cmpx_ne_u32_e32 0, v10
	s_cbranch_execz .LBB5_24
; %bb.21:                               ;   in Loop: Header=BB5_3 Depth=1
	v_mov_b32_e32 v16, 0
	v_mov_b32_e32 v17, 0
	s_mov_b64 s[4:5], 0
	s_mov_b32 s16, 0
	s_mov_b64 s[10:11], 0
	.p2align	6
.LBB5_22:                               ;   Parent Loop BB5_3 Depth=1
                                        ; =>  This Inner Loop Header: Depth=2
	v_add_co_u32 v20, vcc_lo, v18, s10
	v_add_co_ci_u32_e64 v21, null, s11, v19, vcc_lo
	s_add_u32 s10, s10, 1
	s_addc_u32 s11, s11, 0
	v_cmp_eq_u32_e32 vcc_lo, s10, v10
	global_load_ubyte v0, v[20:21], off
	v_mov_b32_e32 v21, s15
	s_waitcnt vmcnt(0)
	v_and_b32_e32 v20, 0xffff, v0
	v_lshlrev_b64 v[20:21], s4, v[20:21]
	s_add_u32 s4, s4, 8
	s_addc_u32 s5, s5, 0
	s_or_b32 s16, vcc_lo, s16
	v_or_b32_e32 v17, v21, v17
	v_or_b32_e32 v16, v20, v16
	s_andn2_b32 exec_lo, exec_lo, s16
	s_cbranch_execnz .LBB5_22
; %bb.23:                               ;   in Loop: Header=BB5_3 Depth=1
	s_or_b32 exec_lo, exec_lo, s16
.LBB5_24:                               ;   in Loop: Header=BB5_3 Depth=1
	s_or_b32 exec_lo, exec_lo, s13
	v_mov_b32_e32 v21, v19
	v_mov_b32_e32 v20, v18
                                        ; implicit-def: $vgpr10
.LBB5_25:                               ;   in Loop: Header=BB5_3 Depth=1
	s_or_saveexec_b32 s4, s12
	v_mov_b32_e32 v0, 0
	s_xor_b32 exec_lo, exec_lo, s4
	s_cbranch_execz .LBB5_27
; %bb.26:                               ;   in Loop: Header=BB5_3 Depth=1
	global_load_dwordx2 v[16:17], v[18:19], off
	v_add_nc_u32_e32 v0, -8, v10
.LBB5_27:                               ;   in Loop: Header=BB5_3 Depth=1
	s_or_b32 exec_lo, exec_lo, s4
	v_add_co_u32 v22, s4, v20, 8
	v_add_co_ci_u32_e64 v23, null, 0, v21, s4
                                        ; implicit-def: $vgpr18_vgpr19
	s_mov_b32 s4, exec_lo
	v_cmpx_gt_u32_e32 8, v0
	s_xor_b32 s12, exec_lo, s4
	s_cbranch_execz .LBB5_33
; %bb.28:                               ;   in Loop: Header=BB5_3 Depth=1
	v_mov_b32_e32 v18, 0
	v_mov_b32_e32 v19, 0
	s_mov_b32 s13, exec_lo
	v_cmpx_ne_u32_e32 0, v0
	s_cbranch_execz .LBB5_32
; %bb.29:                               ;   in Loop: Header=BB5_3 Depth=1
	v_mov_b32_e32 v18, 0
	v_mov_b32_e32 v19, 0
	s_mov_b64 s[4:5], 0
	s_mov_b32 s16, 0
	s_mov_b64 s[10:11], 0
	.p2align	6
.LBB5_30:                               ;   Parent Loop BB5_3 Depth=1
                                        ; =>  This Inner Loop Header: Depth=2
	v_add_co_u32 v22, vcc_lo, v20, s10
	v_add_co_ci_u32_e64 v23, null, s11, v21, vcc_lo
	s_add_u32 s10, s10, 1
	s_addc_u32 s11, s11, 0
	v_cmp_eq_u32_e32 vcc_lo, s10, v0
	global_load_ubyte v10, v[22:23], off
	v_mov_b32_e32 v23, s15
	s_waitcnt vmcnt(0)
	v_and_b32_e32 v22, 0xffff, v10
	v_lshlrev_b64 v[22:23], s4, v[22:23]
	s_add_u32 s4, s4, 8
	s_addc_u32 s5, s5, 0
	s_or_b32 s16, vcc_lo, s16
	v_or_b32_e32 v19, v23, v19
	v_or_b32_e32 v18, v22, v18
	s_andn2_b32 exec_lo, exec_lo, s16
	s_cbranch_execnz .LBB5_30
; %bb.31:                               ;   in Loop: Header=BB5_3 Depth=1
	s_or_b32 exec_lo, exec_lo, s16
.LBB5_32:                               ;   in Loop: Header=BB5_3 Depth=1
	s_or_b32 exec_lo, exec_lo, s13
	v_mov_b32_e32 v23, v21
	v_mov_b32_e32 v22, v20
                                        ; implicit-def: $vgpr0
.LBB5_33:                               ;   in Loop: Header=BB5_3 Depth=1
	s_or_saveexec_b32 s4, s12
	v_mov_b32_e32 v10, 0
	s_xor_b32 exec_lo, exec_lo, s4
	s_cbranch_execz .LBB5_35
; %bb.34:                               ;   in Loop: Header=BB5_3 Depth=1
	global_load_dwordx2 v[18:19], v[20:21], off
	v_add_nc_u32_e32 v10, -8, v0
.LBB5_35:                               ;   in Loop: Header=BB5_3 Depth=1
	s_or_b32 exec_lo, exec_lo, s4
	v_add_co_u32 v24, s4, v22, 8
	v_add_co_ci_u32_e64 v25, null, 0, v23, s4
	s_mov_b32 s4, exec_lo
	v_cmpx_gt_u32_e32 8, v10
	s_xor_b32 s12, exec_lo, s4
	s_cbranch_execz .LBB5_41
; %bb.36:                               ;   in Loop: Header=BB5_3 Depth=1
	v_mov_b32_e32 v20, 0
	v_mov_b32_e32 v21, 0
	s_mov_b32 s13, exec_lo
	v_cmpx_ne_u32_e32 0, v10
	s_cbranch_execz .LBB5_40
; %bb.37:                               ;   in Loop: Header=BB5_3 Depth=1
	v_mov_b32_e32 v20, 0
	v_mov_b32_e32 v21, 0
	s_mov_b64 s[4:5], 0
	s_mov_b32 s16, 0
	s_mov_b64 s[10:11], 0
	.p2align	6
.LBB5_38:                               ;   Parent Loop BB5_3 Depth=1
                                        ; =>  This Inner Loop Header: Depth=2
	v_add_co_u32 v24, vcc_lo, v22, s10
	v_add_co_ci_u32_e64 v25, null, s11, v23, vcc_lo
	s_add_u32 s10, s10, 1
	s_addc_u32 s11, s11, 0
	v_cmp_eq_u32_e32 vcc_lo, s10, v10
	global_load_ubyte v0, v[24:25], off
	v_mov_b32_e32 v25, s15
	s_waitcnt vmcnt(0)
	v_and_b32_e32 v24, 0xffff, v0
	v_lshlrev_b64 v[24:25], s4, v[24:25]
	s_add_u32 s4, s4, 8
	s_addc_u32 s5, s5, 0
	s_or_b32 s16, vcc_lo, s16
	v_or_b32_e32 v21, v25, v21
	v_or_b32_e32 v20, v24, v20
	s_andn2_b32 exec_lo, exec_lo, s16
	s_cbranch_execnz .LBB5_38
; %bb.39:                               ;   in Loop: Header=BB5_3 Depth=1
	s_or_b32 exec_lo, exec_lo, s16
.LBB5_40:                               ;   in Loop: Header=BB5_3 Depth=1
	s_or_b32 exec_lo, exec_lo, s13
	v_mov_b32_e32 v25, v23
	v_mov_b32_e32 v24, v22
                                        ; implicit-def: $vgpr10
.LBB5_41:                               ;   in Loop: Header=BB5_3 Depth=1
	s_or_saveexec_b32 s4, s12
	v_mov_b32_e32 v0, 0
	s_xor_b32 exec_lo, exec_lo, s4
	s_cbranch_execz .LBB5_43
; %bb.42:                               ;   in Loop: Header=BB5_3 Depth=1
	global_load_dwordx2 v[20:21], v[22:23], off
	v_add_nc_u32_e32 v0, -8, v10
.LBB5_43:                               ;   in Loop: Header=BB5_3 Depth=1
	s_or_b32 exec_lo, exec_lo, s4
	v_add_co_u32 v26, s4, v24, 8
	v_add_co_ci_u32_e64 v27, null, 0, v25, s4
                                        ; implicit-def: $vgpr22_vgpr23
	s_mov_b32 s4, exec_lo
	v_cmpx_gt_u32_e32 8, v0
	s_xor_b32 s12, exec_lo, s4
	s_cbranch_execz .LBB5_49
; %bb.44:                               ;   in Loop: Header=BB5_3 Depth=1
	v_mov_b32_e32 v22, 0
	v_mov_b32_e32 v23, 0
	s_mov_b32 s13, exec_lo
	v_cmpx_ne_u32_e32 0, v0
	s_cbranch_execz .LBB5_48
; %bb.45:                               ;   in Loop: Header=BB5_3 Depth=1
	v_mov_b32_e32 v22, 0
	v_mov_b32_e32 v23, 0
	s_mov_b64 s[4:5], 0
	s_mov_b32 s16, 0
	s_mov_b64 s[10:11], 0
	.p2align	6
.LBB5_46:                               ;   Parent Loop BB5_3 Depth=1
                                        ; =>  This Inner Loop Header: Depth=2
	v_add_co_u32 v26, vcc_lo, v24, s10
	v_add_co_ci_u32_e64 v27, null, s11, v25, vcc_lo
	s_add_u32 s10, s10, 1
	s_addc_u32 s11, s11, 0
	v_cmp_eq_u32_e32 vcc_lo, s10, v0
	global_load_ubyte v10, v[26:27], off
	v_mov_b32_e32 v27, s15
	s_waitcnt vmcnt(0)
	v_and_b32_e32 v26, 0xffff, v10
	v_lshlrev_b64 v[26:27], s4, v[26:27]
	s_add_u32 s4, s4, 8
	s_addc_u32 s5, s5, 0
	s_or_b32 s16, vcc_lo, s16
	v_or_b32_e32 v23, v27, v23
	v_or_b32_e32 v22, v26, v22
	s_andn2_b32 exec_lo, exec_lo, s16
	s_cbranch_execnz .LBB5_46
; %bb.47:                               ;   in Loop: Header=BB5_3 Depth=1
	s_or_b32 exec_lo, exec_lo, s16
.LBB5_48:                               ;   in Loop: Header=BB5_3 Depth=1
	s_or_b32 exec_lo, exec_lo, s13
	v_mov_b32_e32 v27, v25
	v_mov_b32_e32 v26, v24
                                        ; implicit-def: $vgpr0
.LBB5_49:                               ;   in Loop: Header=BB5_3 Depth=1
	s_or_saveexec_b32 s4, s12
	v_mov_b32_e32 v10, 0
	s_xor_b32 exec_lo, exec_lo, s4
	s_cbranch_execz .LBB5_51
; %bb.50:                               ;   in Loop: Header=BB5_3 Depth=1
	global_load_dwordx2 v[22:23], v[24:25], off
	v_add_nc_u32_e32 v10, -8, v0
.LBB5_51:                               ;   in Loop: Header=BB5_3 Depth=1
	s_or_b32 exec_lo, exec_lo, s4
	s_mov_b32 s4, exec_lo
	v_cmpx_gt_u32_e32 8, v10
	s_xor_b32 s10, exec_lo, s4
	s_cbranch_execz .LBB5_57
; %bb.52:                               ;   in Loop: Header=BB5_3 Depth=1
	v_mov_b32_e32 v24, 0
	v_mov_b32_e32 v25, 0
	s_mov_b32 s11, exec_lo
	v_cmpx_ne_u32_e32 0, v10
	s_cbranch_execz .LBB5_56
; %bb.53:                               ;   in Loop: Header=BB5_3 Depth=1
	v_mov_b32_e32 v24, 0
	v_mov_b32_e32 v25, 0
	s_mov_b64 s[4:5], 0
	s_mov_b32 s12, 0
	.p2align	6
.LBB5_54:                               ;   Parent Loop BB5_3 Depth=1
                                        ; =>  This Inner Loop Header: Depth=2
	global_load_ubyte v0, v[26:27], off
	v_mov_b32_e32 v29, s15
	v_add_nc_u32_e32 v10, -1, v10
	v_add_co_u32 v26, vcc_lo, v26, 1
	v_add_co_ci_u32_e64 v27, null, 0, v27, vcc_lo
	v_cmp_eq_u32_e32 vcc_lo, 0, v10
	s_waitcnt vmcnt(0)
	v_and_b32_e32 v28, 0xffff, v0
	v_lshlrev_b64 v[28:29], s4, v[28:29]
	s_add_u32 s4, s4, 8
	s_addc_u32 s5, s5, 0
	s_or_b32 s12, vcc_lo, s12
	v_or_b32_e32 v25, v29, v25
	v_or_b32_e32 v24, v28, v24
	s_andn2_b32 exec_lo, exec_lo, s12
	s_cbranch_execnz .LBB5_54
; %bb.55:                               ;   in Loop: Header=BB5_3 Depth=1
	s_or_b32 exec_lo, exec_lo, s12
.LBB5_56:                               ;   in Loop: Header=BB5_3 Depth=1
	s_or_b32 exec_lo, exec_lo, s11
                                        ; implicit-def: $vgpr26_vgpr27
.LBB5_57:                               ;   in Loop: Header=BB5_3 Depth=1
	s_andn2_saveexec_b32 s4, s10
	s_cbranch_execz .LBB5_59
; %bb.58:                               ;   in Loop: Header=BB5_3 Depth=1
	global_load_dwordx2 v[24:25], v[26:27], off
.LBB5_59:                               ;   in Loop: Header=BB5_3 Depth=1
	s_or_b32 exec_lo, exec_lo, s4
	v_readfirstlane_b32 s4, v36
	v_mov_b32_e32 v34, 0
	v_mov_b32_e32 v35, 0
	v_cmp_eq_u32_e64 s4, s4, v36
	s_and_saveexec_b32 s5, s4
	s_cbranch_execz .LBB5_65
; %bb.60:                               ;   in Loop: Header=BB5_3 Depth=1
	s_waitcnt lgkmcnt(0)
	global_load_dwordx2 v[28:29], v11, s[6:7] offset:24 glc dlc
	s_waitcnt vmcnt(0)
	buffer_gl1_inv
	buffer_gl0_inv
	s_clause 0x1
	global_load_dwordx2 v[26:27], v11, s[6:7] offset:40
	global_load_dwordx2 v[34:35], v11, s[6:7]
	s_mov_b32 s10, exec_lo
	s_waitcnt vmcnt(1)
	v_and_b32_e32 v0, v27, v29
	v_and_b32_e32 v10, v26, v28
	v_mul_lo_u32 v0, v0, 24
	v_mul_hi_u32 v26, v10, 24
	v_mul_lo_u32 v10, v10, 24
	v_add_nc_u32_e32 v0, v26, v0
	s_waitcnt vmcnt(0)
	v_add_co_u32 v26, vcc_lo, v34, v10
	v_add_co_ci_u32_e64 v27, null, v35, v0, vcc_lo
	global_load_dwordx2 v[26:27], v[26:27], off glc dlc
	s_waitcnt vmcnt(0)
	global_atomic_cmpswap_x2 v[34:35], v11, v[26:29], s[6:7] offset:24 glc
	s_waitcnt vmcnt(0)
	buffer_gl1_inv
	buffer_gl0_inv
	v_cmpx_ne_u64_e64 v[34:35], v[28:29]
	s_cbranch_execz .LBB5_64
; %bb.61:                               ;   in Loop: Header=BB5_3 Depth=1
	s_mov_b32 s11, 0
	.p2align	6
.LBB5_62:                               ;   Parent Loop BB5_3 Depth=1
                                        ; =>  This Inner Loop Header: Depth=2
	s_sleep 1
	s_clause 0x1
	global_load_dwordx2 v[26:27], v11, s[6:7] offset:40
	global_load_dwordx2 v[37:38], v11, s[6:7]
	v_mov_b32_e32 v28, v34
	v_mov_b32_e32 v29, v35
	s_waitcnt vmcnt(1)
	v_and_b32_e32 v0, v26, v28
	v_and_b32_e32 v10, v27, v29
	s_waitcnt vmcnt(0)
	v_mad_u64_u32 v[34:35], null, v0, 24, v[37:38]
	v_mov_b32_e32 v0, v35
	v_mad_u64_u32 v[26:27], null, v10, 24, v[0:1]
	v_mov_b32_e32 v35, v26
	global_load_dwordx2 v[26:27], v[34:35], off glc dlc
	s_waitcnt vmcnt(0)
	global_atomic_cmpswap_x2 v[34:35], v11, v[26:29], s[6:7] offset:24 glc
	s_waitcnt vmcnt(0)
	buffer_gl1_inv
	buffer_gl0_inv
	v_cmp_eq_u64_e32 vcc_lo, v[34:35], v[28:29]
	s_or_b32 s11, vcc_lo, s11
	s_andn2_b32 exec_lo, exec_lo, s11
	s_cbranch_execnz .LBB5_62
; %bb.63:                               ;   in Loop: Header=BB5_3 Depth=1
	s_or_b32 exec_lo, exec_lo, s11
.LBB5_64:                               ;   in Loop: Header=BB5_3 Depth=1
	s_or_b32 exec_lo, exec_lo, s10
.LBB5_65:                               ;   in Loop: Header=BB5_3 Depth=1
	s_or_b32 exec_lo, exec_lo, s5
	s_waitcnt lgkmcnt(0)
	s_clause 0x1
	global_load_dwordx2 v[37:38], v11, s[6:7] offset:40
	global_load_dwordx4 v[26:29], v11, s[6:7]
	v_readfirstlane_b32 s11, v35
	v_readfirstlane_b32 s10, v34
	s_mov_b32 s5, exec_lo
	s_waitcnt vmcnt(1)
	v_readfirstlane_b32 s12, v37
	v_readfirstlane_b32 s13, v38
	s_and_b64 s[12:13], s[12:13], s[10:11]
	s_mul_i32 s16, s13, 24
	s_mul_hi_u32 s17, s12, 24
	s_mul_i32 s18, s12, 24
	s_add_i32 s17, s17, s16
	s_waitcnt vmcnt(0)
	v_add_co_u32 v34, vcc_lo, v26, s18
	v_add_co_ci_u32_e64 v35, null, s17, v27, vcc_lo
	s_and_saveexec_b32 s16, s4
	s_cbranch_execz .LBB5_67
; %bb.66:                               ;   in Loop: Header=BB5_3 Depth=1
	v_mov_b32_e32 v10, s5
	global_store_dwordx4 v[34:35], v[10:13], off offset:8
.LBB5_67:                               ;   in Loop: Header=BB5_3 Depth=1
	s_or_b32 exec_lo, exec_lo, s16
	v_cmp_gt_u64_e32 vcc_lo, 57, v[4:5]
	s_lshl_b64 s[12:13], s[12:13], 12
	v_and_b32_e32 v6, 0xffffff1f, v6
	v_lshl_add_u32 v37, v32, 2, 28
	v_cndmask_b32_e32 v10, 0, v2, vcc_lo
	v_add_co_u32 v0, vcc_lo, v28, s12
	v_add_co_ci_u32_e64 v28, null, s13, v29, vcc_lo
	v_or_b32_e32 v6, v6, v10
	v_lshlrev_b32_e32 v29, 6, v36
	v_readfirstlane_b32 s12, v0
	v_readfirstlane_b32 s13, v28
	v_and_or_b32 v6, 0x1e0, v37, v6
	global_store_dwordx4 v29, v[14:17], s[12:13] offset:16
	global_store_dwordx4 v29, v[6:9], s[12:13]
	global_store_dwordx4 v29, v[18:21], s[12:13] offset:32
	global_store_dwordx4 v29, v[22:25], s[12:13] offset:48
	s_and_saveexec_b32 s5, s4
	s_cbranch_execz .LBB5_75
; %bb.68:                               ;   in Loop: Header=BB5_3 Depth=1
	s_clause 0x1
	global_load_dwordx2 v[18:19], v11, s[6:7] offset:32 glc dlc
	global_load_dwordx2 v[6:7], v11, s[6:7] offset:40
	v_mov_b32_e32 v16, s10
	v_mov_b32_e32 v17, s11
	s_waitcnt vmcnt(0)
	v_readfirstlane_b32 s12, v6
	v_readfirstlane_b32 s13, v7
	s_and_b64 s[12:13], s[12:13], s[10:11]
	s_mul_i32 s13, s13, 24
	s_mul_hi_u32 s16, s12, 24
	s_mul_i32 s12, s12, 24
	s_add_i32 s16, s16, s13
	v_add_co_u32 v14, vcc_lo, v26, s12
	v_add_co_ci_u32_e64 v15, null, s16, v27, vcc_lo
	s_mov_b32 s12, exec_lo
	global_store_dwordx2 v[14:15], v[18:19], off
	s_waitcnt_vscnt null, 0x0
	global_atomic_cmpswap_x2 v[8:9], v11, v[16:19], s[6:7] offset:32 glc
	s_waitcnt vmcnt(0)
	v_cmpx_ne_u64_e64 v[8:9], v[18:19]
	s_cbranch_execz .LBB5_71
; %bb.69:                               ;   in Loop: Header=BB5_3 Depth=1
	s_mov_b32 s13, 0
.LBB5_70:                               ;   Parent Loop BB5_3 Depth=1
                                        ; =>  This Inner Loop Header: Depth=2
	v_mov_b32_e32 v6, s10
	v_mov_b32_e32 v7, s11
	s_sleep 1
	global_store_dwordx2 v[14:15], v[8:9], off
	s_waitcnt_vscnt null, 0x0
	global_atomic_cmpswap_x2 v[6:7], v11, v[6:9], s[6:7] offset:32 glc
	s_waitcnt vmcnt(0)
	v_cmp_eq_u64_e32 vcc_lo, v[6:7], v[8:9]
	v_mov_b32_e32 v9, v7
	v_mov_b32_e32 v8, v6
	s_or_b32 s13, vcc_lo, s13
	s_andn2_b32 exec_lo, exec_lo, s13
	s_cbranch_execnz .LBB5_70
.LBB5_71:                               ;   in Loop: Header=BB5_3 Depth=1
	s_or_b32 exec_lo, exec_lo, s12
	global_load_dwordx2 v[6:7], v11, s[6:7] offset:16
	s_mov_b32 s13, exec_lo
	s_mov_b32 s12, exec_lo
	v_mbcnt_lo_u32_b32 v8, s13, 0
	v_cmpx_eq_u32_e32 0, v8
	s_cbranch_execz .LBB5_73
; %bb.72:                               ;   in Loop: Header=BB5_3 Depth=1
	s_bcnt1_i32_b32 s13, s13
	v_mov_b32_e32 v10, s13
	s_waitcnt vmcnt(0)
	global_atomic_add_x2 v[6:7], v[10:11], off offset:8
.LBB5_73:                               ;   in Loop: Header=BB5_3 Depth=1
	s_or_b32 exec_lo, exec_lo, s12
	s_waitcnt vmcnt(0)
	global_load_dwordx2 v[8:9], v[6:7], off offset:16
	s_waitcnt vmcnt(0)
	v_cmp_eq_u64_e32 vcc_lo, 0, v[8:9]
	s_cbranch_vccnz .LBB5_75
; %bb.74:                               ;   in Loop: Header=BB5_3 Depth=1
	global_load_dword v10, v[6:7], off offset:24
	s_waitcnt vmcnt(0)
	v_readfirstlane_b32 s12, v10
	s_waitcnt_vscnt null, 0x0
	global_store_dwordx2 v[8:9], v[10:11], off
	s_and_b32 m0, s12, 0x7fffff
	s_sendmsg sendmsg(MSG_INTERRUPT)
.LBB5_75:                               ;   in Loop: Header=BB5_3 Depth=1
	s_or_b32 exec_lo, exec_lo, s5
	v_add_co_u32 v6, vcc_lo, v0, v29
	v_add_co_ci_u32_e64 v7, null, 0, v28, vcc_lo
	s_branch .LBB5_79
	.p2align	6
.LBB5_76:                               ;   in Loop: Header=BB5_79 Depth=2
	s_or_b32 exec_lo, exec_lo, s5
	v_readfirstlane_b32 s5, v0
	s_cmp_eq_u32 s5, 0
	s_cbranch_scc1 .LBB5_78
; %bb.77:                               ;   in Loop: Header=BB5_79 Depth=2
	s_sleep 1
	s_cbranch_execnz .LBB5_79
	s_branch .LBB5_81
	.p2align	6
.LBB5_78:                               ;   in Loop: Header=BB5_3 Depth=1
	s_branch .LBB5_81
.LBB5_79:                               ;   Parent Loop BB5_3 Depth=1
                                        ; =>  This Inner Loop Header: Depth=2
	v_mov_b32_e32 v0, 1
	s_and_saveexec_b32 s5, s4
	s_cbranch_execz .LBB5_76
; %bb.80:                               ;   in Loop: Header=BB5_79 Depth=2
	global_load_dword v0, v[34:35], off offset:20 glc dlc
	s_waitcnt vmcnt(0)
	buffer_gl1_inv
	buffer_gl0_inv
	v_and_b32_e32 v0, 1, v0
	s_branch .LBB5_76
.LBB5_81:                               ;   in Loop: Header=BB5_3 Depth=1
	global_load_dwordx2 v[6:7], v[6:7], off
	s_and_saveexec_b32 s12, s4
	s_cbranch_execz .LBB5_2
; %bb.82:                               ;   in Loop: Header=BB5_3 Depth=1
	s_clause 0x2
	global_load_dwordx2 v[8:9], v11, s[6:7] offset:40
	global_load_dwordx2 v[18:19], v11, s[6:7] offset:24 glc dlc
	global_load_dwordx2 v[14:15], v11, s[6:7]
	s_waitcnt vmcnt(2)
	v_readfirstlane_b32 s16, v8
	v_readfirstlane_b32 s17, v9
	s_add_u32 s13, s16, 1
	s_addc_u32 s18, s17, 0
	s_add_u32 s4, s13, s10
	s_addc_u32 s5, s18, s11
	s_cmp_eq_u64 s[4:5], 0
	s_cselect_b32 s5, s18, s5
	s_cselect_b32 s4, s13, s4
	v_mov_b32_e32 v17, s5
	s_and_b64 s[10:11], s[4:5], s[16:17]
	v_mov_b32_e32 v16, s4
	s_mul_i32 s11, s11, 24
	s_mul_hi_u32 s13, s10, 24
	s_mul_i32 s10, s10, 24
	s_add_i32 s13, s13, s11
	s_waitcnt vmcnt(0)
	v_add_co_u32 v8, vcc_lo, v14, s10
	v_add_co_ci_u32_e64 v9, null, s13, v15, vcc_lo
	global_store_dwordx2 v[8:9], v[18:19], off
	s_waitcnt_vscnt null, 0x0
	global_atomic_cmpswap_x2 v[16:17], v11, v[16:19], s[6:7] offset:24 glc
	s_waitcnt vmcnt(0)
	v_cmp_ne_u64_e32 vcc_lo, v[16:17], v[18:19]
	s_and_b32 exec_lo, exec_lo, vcc_lo
	s_cbranch_execz .LBB5_2
; %bb.83:                               ;   in Loop: Header=BB5_3 Depth=1
	s_mov_b32 s10, 0
.LBB5_84:                               ;   Parent Loop BB5_3 Depth=1
                                        ; =>  This Inner Loop Header: Depth=2
	v_mov_b32_e32 v14, s4
	v_mov_b32_e32 v15, s5
	s_sleep 1
	global_store_dwordx2 v[8:9], v[16:17], off
	s_waitcnt_vscnt null, 0x0
	global_atomic_cmpswap_x2 v[14:15], v11, v[14:17], s[6:7] offset:24 glc
	s_waitcnt vmcnt(0)
	v_cmp_eq_u64_e32 vcc_lo, v[14:15], v[16:17]
	v_mov_b32_e32 v17, v15
	v_mov_b32_e32 v16, v14
	s_or_b32 s10, vcc_lo, s10
	s_andn2_b32 exec_lo, exec_lo, s10
	s_cbranch_execnz .LBB5_84
	s_branch .LBB5_2
.LBB5_85:
	s_or_b32 exec_lo, exec_lo, s14
.LBB5_86:
	s_waitcnt vmcnt(0)
	v_mov_b32_e32 v0, v6
	v_mov_b32_e32 v1, v7
	s_waitcnt lgkmcnt(0)
	s_setpc_b64 s[30:31]
.LBB5_87:
                                        ; implicit-def: $vgpr6_vgpr7
	s_cbranch_execz .LBB5_86
; %bb.88:
	s_load_dwordx2 s[6:7], s[8:9], 0x50
	v_readfirstlane_b32 s4, v36
	v_mov_b32_e32 v8, 0
	v_mov_b32_e32 v9, 0
	v_cmp_eq_u32_e64 s4, s4, v36
	s_and_saveexec_b32 s5, s4
	s_cbranch_execz .LBB5_94
; %bb.89:
	v_mov_b32_e32 v0, 0
	s_mov_b32 s8, exec_lo
	s_waitcnt lgkmcnt(0)
	global_load_dwordx2 v[6:7], v0, s[6:7] offset:24 glc dlc
	s_waitcnt vmcnt(0)
	buffer_gl1_inv
	buffer_gl0_inv
	s_clause 0x1
	global_load_dwordx2 v[4:5], v0, s[6:7] offset:40
	global_load_dwordx2 v[8:9], v0, s[6:7]
	s_waitcnt vmcnt(1)
	v_and_b32_e32 v2, v5, v7
	v_and_b32_e32 v4, v4, v6
	v_mul_lo_u32 v2, v2, 24
	v_mul_hi_u32 v5, v4, 24
	v_mul_lo_u32 v4, v4, 24
	v_add_nc_u32_e32 v2, v5, v2
	s_waitcnt vmcnt(0)
	v_add_co_u32 v4, vcc_lo, v8, v4
	v_add_co_ci_u32_e64 v5, null, v9, v2, vcc_lo
	global_load_dwordx2 v[4:5], v[4:5], off glc dlc
	s_waitcnt vmcnt(0)
	global_atomic_cmpswap_x2 v[8:9], v0, v[4:7], s[6:7] offset:24 glc
	s_waitcnt vmcnt(0)
	buffer_gl1_inv
	buffer_gl0_inv
	v_cmpx_ne_u64_e64 v[8:9], v[6:7]
	s_cbranch_execz .LBB5_93
; %bb.90:
	s_mov_b32 s9, 0
	.p2align	6
.LBB5_91:                               ; =>This Inner Loop Header: Depth=1
	s_sleep 1
	s_clause 0x1
	global_load_dwordx2 v[4:5], v0, s[6:7] offset:40
	global_load_dwordx2 v[10:11], v0, s[6:7]
	v_mov_b32_e32 v6, v8
	v_mov_b32_e32 v7, v9
	s_waitcnt vmcnt(1)
	v_and_b32_e32 v2, v4, v6
	v_and_b32_e32 v4, v5, v7
	s_waitcnt vmcnt(0)
	v_mad_u64_u32 v[8:9], null, v2, 24, v[10:11]
	v_mov_b32_e32 v2, v9
	v_mad_u64_u32 v[4:5], null, v4, 24, v[2:3]
	v_mov_b32_e32 v9, v4
	global_load_dwordx2 v[4:5], v[8:9], off glc dlc
	s_waitcnt vmcnt(0)
	global_atomic_cmpswap_x2 v[8:9], v0, v[4:7], s[6:7] offset:24 glc
	s_waitcnt vmcnt(0)
	buffer_gl1_inv
	buffer_gl0_inv
	v_cmp_eq_u64_e32 vcc_lo, v[8:9], v[6:7]
	s_or_b32 s9, vcc_lo, s9
	s_andn2_b32 exec_lo, exec_lo, s9
	s_cbranch_execnz .LBB5_91
; %bb.92:
	s_or_b32 exec_lo, exec_lo, s9
.LBB5_93:
	s_or_b32 exec_lo, exec_lo, s8
.LBB5_94:
	s_or_b32 exec_lo, exec_lo, s5
	v_mov_b32_e32 v2, 0
	v_readfirstlane_b32 s9, v9
	v_readfirstlane_b32 s8, v8
	s_mov_b32 s5, exec_lo
	s_waitcnt lgkmcnt(0)
	s_clause 0x1
	global_load_dwordx2 v[10:11], v2, s[6:7] offset:40
	global_load_dwordx4 v[4:7], v2, s[6:7]
	s_waitcnt vmcnt(1)
	v_readfirstlane_b32 s10, v10
	v_readfirstlane_b32 s11, v11
	s_and_b64 s[10:11], s[10:11], s[8:9]
	s_mul_i32 s12, s11, 24
	s_mul_hi_u32 s13, s10, 24
	s_mul_i32 s14, s10, 24
	s_add_i32 s13, s13, s12
	s_waitcnt vmcnt(0)
	v_add_co_u32 v8, vcc_lo, v4, s14
	v_add_co_ci_u32_e64 v9, null, s13, v5, vcc_lo
	s_and_saveexec_b32 s12, s4
	s_cbranch_execz .LBB5_96
; %bb.95:
	v_mov_b32_e32 v10, s5
	v_mov_b32_e32 v11, v2
	;; [unrolled: 1-line block ×4, first 2 shown]
	global_store_dwordx4 v[8:9], v[10:13], off offset:8
.LBB5_96:
	s_or_b32 exec_lo, exec_lo, s12
	s_lshl_b64 s[10:11], s[10:11], 12
	v_lshlrev_b32_e32 v14, 6, v36
	v_add_co_u32 v6, vcc_lo, v6, s10
	v_add_co_ci_u32_e64 v7, null, s11, v7, vcc_lo
	s_mov_b32 s12, 0
	v_readfirstlane_b32 s10, v6
	v_add_co_u32 v6, vcc_lo, v6, v14
	s_mov_b32 s13, s12
	s_mov_b32 s14, s12
	;; [unrolled: 1-line block ×3, first 2 shown]
	v_and_or_b32 v0, 0xffffff1f, v3, 32
	v_mov_b32_e32 v3, v2
	v_readfirstlane_b32 s11, v7
	v_mov_b32_e32 v10, s12
	v_add_co_ci_u32_e64 v7, null, 0, v7, vcc_lo
	v_mov_b32_e32 v11, s13
	v_mov_b32_e32 v12, s14
	;; [unrolled: 1-line block ×3, first 2 shown]
	global_store_dwordx4 v14, v[0:3], s[10:11]
	global_store_dwordx4 v14, v[10:13], s[10:11] offset:16
	global_store_dwordx4 v14, v[10:13], s[10:11] offset:32
	;; [unrolled: 1-line block ×3, first 2 shown]
	s_and_saveexec_b32 s5, s4
	s_cbranch_execz .LBB5_104
; %bb.97:
	v_mov_b32_e32 v10, 0
	v_mov_b32_e32 v11, s8
	v_mov_b32_e32 v12, s9
	s_mov_b32 s10, exec_lo
	s_clause 0x1
	global_load_dwordx2 v[13:14], v10, s[6:7] offset:32 glc dlc
	global_load_dwordx2 v[0:1], v10, s[6:7] offset:40
	s_waitcnt vmcnt(0)
	v_and_b32_e32 v1, s9, v1
	v_and_b32_e32 v0, s8, v0
	v_mul_lo_u32 v1, v1, 24
	v_mul_hi_u32 v2, v0, 24
	v_mul_lo_u32 v0, v0, 24
	v_add_nc_u32_e32 v1, v2, v1
	v_add_co_u32 v4, vcc_lo, v4, v0
	v_add_co_ci_u32_e64 v5, null, v5, v1, vcc_lo
	global_store_dwordx2 v[4:5], v[13:14], off
	s_waitcnt_vscnt null, 0x0
	global_atomic_cmpswap_x2 v[2:3], v10, v[11:14], s[6:7] offset:32 glc
	s_waitcnt vmcnt(0)
	v_cmpx_ne_u64_e64 v[2:3], v[13:14]
	s_cbranch_execz .LBB5_100
; %bb.98:
	s_mov_b32 s11, 0
.LBB5_99:                               ; =>This Inner Loop Header: Depth=1
	v_mov_b32_e32 v0, s8
	v_mov_b32_e32 v1, s9
	s_sleep 1
	global_store_dwordx2 v[4:5], v[2:3], off
	s_waitcnt_vscnt null, 0x0
	global_atomic_cmpswap_x2 v[0:1], v10, v[0:3], s[6:7] offset:32 glc
	s_waitcnt vmcnt(0)
	v_cmp_eq_u64_e32 vcc_lo, v[0:1], v[2:3]
	v_mov_b32_e32 v3, v1
	v_mov_b32_e32 v2, v0
	s_or_b32 s11, vcc_lo, s11
	s_andn2_b32 exec_lo, exec_lo, s11
	s_cbranch_execnz .LBB5_99
.LBB5_100:
	s_or_b32 exec_lo, exec_lo, s10
	v_mov_b32_e32 v3, 0
	s_mov_b32 s11, exec_lo
	s_mov_b32 s10, exec_lo
	v_mbcnt_lo_u32_b32 v2, s11, 0
	global_load_dwordx2 v[0:1], v3, s[6:7] offset:16
	v_cmpx_eq_u32_e32 0, v2
	s_cbranch_execz .LBB5_102
; %bb.101:
	s_bcnt1_i32_b32 s11, s11
	v_mov_b32_e32 v2, s11
	s_waitcnt vmcnt(0)
	global_atomic_add_x2 v[0:1], v[2:3], off offset:8
.LBB5_102:
	s_or_b32 exec_lo, exec_lo, s10
	s_waitcnt vmcnt(0)
	global_load_dwordx2 v[2:3], v[0:1], off offset:16
	s_waitcnt vmcnt(0)
	v_cmp_eq_u64_e32 vcc_lo, 0, v[2:3]
	s_cbranch_vccnz .LBB5_104
; %bb.103:
	global_load_dword v0, v[0:1], off offset:24
	v_mov_b32_e32 v1, 0
	s_waitcnt vmcnt(0)
	v_readfirstlane_b32 s10, v0
	s_waitcnt_vscnt null, 0x0
	global_store_dwordx2 v[2:3], v[0:1], off
	s_and_b32 m0, s10, 0x7fffff
	s_sendmsg sendmsg(MSG_INTERRUPT)
.LBB5_104:
	s_or_b32 exec_lo, exec_lo, s5
	s_branch .LBB5_108
	.p2align	6
.LBB5_105:                              ;   in Loop: Header=BB5_108 Depth=1
	s_or_b32 exec_lo, exec_lo, s5
	v_readfirstlane_b32 s5, v0
	s_cmp_eq_u32 s5, 0
	s_cbranch_scc1 .LBB5_107
; %bb.106:                              ;   in Loop: Header=BB5_108 Depth=1
	s_sleep 1
	s_cbranch_execnz .LBB5_108
	s_branch .LBB5_110
	.p2align	6
.LBB5_107:
	s_branch .LBB5_110
.LBB5_108:                              ; =>This Inner Loop Header: Depth=1
	v_mov_b32_e32 v0, 1
	s_and_saveexec_b32 s5, s4
	s_cbranch_execz .LBB5_105
; %bb.109:                              ;   in Loop: Header=BB5_108 Depth=1
	global_load_dword v0, v[8:9], off offset:20 glc dlc
	s_waitcnt vmcnt(0)
	buffer_gl1_inv
	buffer_gl0_inv
	v_and_b32_e32 v0, 1, v0
	s_branch .LBB5_105
.LBB5_110:
	global_load_dwordx2 v[6:7], v[6:7], off
	s_and_saveexec_b32 s10, s4
	s_cbranch_execz .LBB5_114
; %bb.111:
	v_mov_b32_e32 v8, 0
	s_clause 0x2
	global_load_dwordx2 v[0:1], v8, s[6:7] offset:40
	global_load_dwordx2 v[11:12], v8, s[6:7] offset:24 glc dlc
	global_load_dwordx2 v[2:3], v8, s[6:7]
	s_waitcnt vmcnt(2)
	v_readfirstlane_b32 s12, v0
	v_readfirstlane_b32 s13, v1
	s_add_u32 s11, s12, 1
	s_addc_u32 s14, s13, 0
	s_add_u32 s4, s11, s8
	s_addc_u32 s5, s14, s9
	s_cmp_eq_u64 s[4:5], 0
	s_cselect_b32 s5, s14, s5
	s_cselect_b32 s4, s11, s4
	v_mov_b32_e32 v10, s5
	s_and_b64 s[8:9], s[4:5], s[12:13]
	v_mov_b32_e32 v9, s4
	s_mul_i32 s9, s9, 24
	s_mul_hi_u32 s11, s8, 24
	s_mul_i32 s8, s8, 24
	s_add_i32 s11, s11, s9
	s_waitcnt vmcnt(0)
	v_add_co_u32 v4, vcc_lo, v2, s8
	v_add_co_ci_u32_e64 v5, null, s11, v3, vcc_lo
	global_store_dwordx2 v[4:5], v[11:12], off
	s_waitcnt_vscnt null, 0x0
	global_atomic_cmpswap_x2 v[2:3], v8, v[9:12], s[6:7] offset:24 glc
	s_waitcnt vmcnt(0)
	v_cmp_ne_u64_e32 vcc_lo, v[2:3], v[11:12]
	s_and_b32 exec_lo, exec_lo, vcc_lo
	s_cbranch_execz .LBB5_114
; %bb.112:
	s_mov_b32 s8, 0
.LBB5_113:                              ; =>This Inner Loop Header: Depth=1
	v_mov_b32_e32 v0, s4
	v_mov_b32_e32 v1, s5
	s_sleep 1
	global_store_dwordx2 v[4:5], v[2:3], off
	s_waitcnt_vscnt null, 0x0
	global_atomic_cmpswap_x2 v[0:1], v8, v[0:3], s[6:7] offset:24 glc
	s_waitcnt vmcnt(0)
	v_cmp_eq_u64_e32 vcc_lo, v[0:1], v[2:3]
	v_mov_b32_e32 v3, v1
	v_mov_b32_e32 v2, v0
	s_or_b32 s8, vcc_lo, s8
	s_andn2_b32 exec_lo, exec_lo, s8
	s_cbranch_execnz .LBB5_113
.LBB5_114:
	s_or_b32 exec_lo, exec_lo, s10
	s_waitcnt vmcnt(0)
	v_mov_b32_e32 v0, v6
	v_mov_b32_e32 v1, v7
	s_waitcnt lgkmcnt(0)
	s_setpc_b64 s[30:31]
.Lfunc_end5:
	.size	__ockl_printf_append_string_n, .Lfunc_end5-__ockl_printf_append_string_n
                                        ; -- End function
	.set .L__ockl_printf_append_string_n.num_vgpr, 39
	.set .L__ockl_printf_append_string_n.num_agpr, 0
	.set .L__ockl_printf_append_string_n.numbered_sgpr, 32
	.set .L__ockl_printf_append_string_n.num_named_barrier, 0
	.set .L__ockl_printf_append_string_n.private_seg_size, 0
	.set .L__ockl_printf_append_string_n.uses_vcc, 1
	.set .L__ockl_printf_append_string_n.uses_flat_scratch, 0
	.set .L__ockl_printf_append_string_n.has_dyn_sized_stack, 0
	.set .L__ockl_printf_append_string_n.has_recursion, 0
	.set .L__ockl_printf_append_string_n.has_indirect_call, 0
	.section	.AMDGPU.csdata,"",@progbits
; Function info:
; codeLenInByte = 4600
; TotalNumSgprs: 34
; NumVgprs: 39
; ScratchSize: 0
; MemoryBound: 0
	.text
	.p2align	2                               ; -- Begin function __ockl_printf_append_args
	.type	__ockl_printf_append_args,@function
__ockl_printf_append_args:              ; @__ockl_printf_append_args
; %bb.0:
	s_waitcnt vmcnt(0) expcnt(0) lgkmcnt(0)
	s_load_dwordx2 s[6:7], s[8:9], 0x50
	v_mbcnt_lo_u32_b32 v15, -1, 0
	v_mov_b32_e32 v11, 0
	v_mov_b32_e32 v12, 0
	v_readfirstlane_b32 s4, v15
	v_cmp_eq_u32_e64 s4, s4, v15
	s_and_saveexec_b32 s5, s4
	s_cbranch_execz .LBB6_6
; %bb.1:
	v_mov_b32_e32 v5, 0
	s_mov_b32 s8, exec_lo
	s_waitcnt lgkmcnt(0)
	global_load_dwordx2 v[8:9], v5, s[6:7] offset:24 glc dlc
	s_waitcnt vmcnt(0)
	buffer_gl1_inv
	buffer_gl0_inv
	s_clause 0x1
	global_load_dwordx2 v[6:7], v5, s[6:7] offset:40
	global_load_dwordx2 v[10:11], v5, s[6:7]
	s_waitcnt vmcnt(1)
	v_and_b32_e32 v7, v7, v9
	v_and_b32_e32 v6, v6, v8
	v_mul_lo_u32 v7, v7, 24
	v_mul_hi_u32 v12, v6, 24
	v_mul_lo_u32 v6, v6, 24
	v_add_nc_u32_e32 v7, v12, v7
	s_waitcnt vmcnt(0)
	v_add_co_u32 v6, vcc_lo, v10, v6
	v_add_co_ci_u32_e64 v7, null, v11, v7, vcc_lo
	global_load_dwordx2 v[6:7], v[6:7], off glc dlc
	s_waitcnt vmcnt(0)
	global_atomic_cmpswap_x2 v[11:12], v5, v[6:9], s[6:7] offset:24 glc
	s_waitcnt vmcnt(0)
	buffer_gl1_inv
	buffer_gl0_inv
	v_cmpx_ne_u64_e64 v[11:12], v[8:9]
	s_cbranch_execz .LBB6_5
; %bb.2:
	s_mov_b32 s9, 0
	.p2align	6
.LBB6_3:                                ; =>This Inner Loop Header: Depth=1
	s_sleep 1
	s_clause 0x1
	global_load_dwordx2 v[6:7], v5, s[6:7] offset:40
	global_load_dwordx2 v[13:14], v5, s[6:7]
	v_mov_b32_e32 v8, v11
	v_mov_b32_e32 v9, v12
	s_waitcnt vmcnt(1)
	v_and_b32_e32 v6, v6, v8
	v_and_b32_e32 v7, v7, v9
	s_waitcnt vmcnt(0)
	v_mad_u64_u32 v[10:11], null, v6, 24, v[13:14]
	v_mov_b32_e32 v6, v11
	v_mad_u64_u32 v[6:7], null, v7, 24, v[6:7]
	v_mov_b32_e32 v11, v6
	global_load_dwordx2 v[6:7], v[10:11], off glc dlc
	s_waitcnt vmcnt(0)
	global_atomic_cmpswap_x2 v[11:12], v5, v[6:9], s[6:7] offset:24 glc
	s_waitcnt vmcnt(0)
	buffer_gl1_inv
	buffer_gl0_inv
	v_cmp_eq_u64_e32 vcc_lo, v[11:12], v[8:9]
	s_or_b32 s9, vcc_lo, s9
	s_andn2_b32 exec_lo, exec_lo, s9
	s_cbranch_execnz .LBB6_3
; %bb.4:
	s_or_b32 exec_lo, exec_lo, s9
.LBB6_5:
	s_or_b32 exec_lo, exec_lo, s8
.LBB6_6:
	s_or_b32 exec_lo, exec_lo, s5
	v_mov_b32_e32 v10, 0
	v_readfirstlane_b32 s9, v12
	v_readfirstlane_b32 s8, v11
	s_mov_b32 s5, exec_lo
	s_waitcnt lgkmcnt(0)
	s_clause 0x1
	global_load_dwordx2 v[13:14], v10, s[6:7] offset:40
	global_load_dwordx4 v[5:8], v10, s[6:7]
	s_waitcnt vmcnt(1)
	v_readfirstlane_b32 s10, v13
	v_readfirstlane_b32 s11, v14
	s_and_b64 s[10:11], s[10:11], s[8:9]
	s_mul_i32 s12, s11, 24
	s_mul_hi_u32 s13, s10, 24
	s_mul_i32 s14, s10, 24
	s_add_i32 s13, s13, s12
	s_waitcnt vmcnt(0)
	v_add_co_u32 v13, vcc_lo, v5, s14
	v_add_co_ci_u32_e64 v14, null, s13, v6, vcc_lo
	s_and_saveexec_b32 s12, s4
	s_cbranch_execz .LBB6_8
; %bb.7:
	v_mov_b32_e32 v9, s5
	v_mov_b32_e32 v11, 2
	v_mov_b32_e32 v12, 1
	global_store_dwordx4 v[13:14], v[9:12], off offset:8
.LBB6_8:
	s_or_b32 exec_lo, exec_lo, s12
	v_or_b32_e32 v9, 2, v0
	v_cmp_eq_u32_e32 vcc_lo, 0, v4
	s_lshl_b64 s[10:11], s[10:11], 12
	s_mov_b32 s12, 0
	v_lshlrev_b32_e32 v11, 6, v15
	s_mov_b32 s13, s12
	v_cndmask_b32_e32 v0, v9, v0, vcc_lo
	v_add_co_u32 v4, vcc_lo, v7, s10
	v_add_co_ci_u32_e64 v7, null, s11, v8, vcc_lo
	s_mov_b32 s14, s12
	s_mov_b32 s15, s12
	v_and_or_b32 v0, 0xffffff1f, v0, 32
	v_readfirstlane_b32 s10, v4
	v_readfirstlane_b32 s11, v7
	v_mov_b32_e32 v7, s12
	v_mov_b32_e32 v8, s13
	;; [unrolled: 1-line block ×4, first 2 shown]
	global_store_dwordx4 v11, v[0:3], s[10:11]
	global_store_dwordx4 v11, v[7:10], s[10:11] offset:16
	global_store_dwordx4 v11, v[7:10], s[10:11] offset:32
	;; [unrolled: 1-line block ×3, first 2 shown]
	s_and_saveexec_b32 s5, s4
	s_cbranch_execz .LBB6_16
; %bb.9:
	v_mov_b32_e32 v7, 0
	v_mov_b32_e32 v8, s8
	;; [unrolled: 1-line block ×3, first 2 shown]
	s_mov_b32 s10, exec_lo
	s_clause 0x1
	global_load_dwordx2 v[10:11], v7, s[6:7] offset:32 glc dlc
	global_load_dwordx2 v[0:1], v7, s[6:7] offset:40
	s_waitcnt vmcnt(0)
	v_and_b32_e32 v1, s9, v1
	v_and_b32_e32 v0, s8, v0
	v_mul_lo_u32 v1, v1, 24
	v_mul_hi_u32 v2, v0, 24
	v_mul_lo_u32 v0, v0, 24
	v_add_nc_u32_e32 v1, v2, v1
	v_add_co_u32 v4, vcc_lo, v5, v0
	v_add_co_ci_u32_e64 v5, null, v6, v1, vcc_lo
	global_store_dwordx2 v[4:5], v[10:11], off
	s_waitcnt_vscnt null, 0x0
	global_atomic_cmpswap_x2 v[2:3], v7, v[8:11], s[6:7] offset:32 glc
	s_waitcnt vmcnt(0)
	v_cmpx_ne_u64_e64 v[2:3], v[10:11]
	s_cbranch_execz .LBB6_12
; %bb.10:
	s_mov_b32 s11, 0
.LBB6_11:                               ; =>This Inner Loop Header: Depth=1
	v_mov_b32_e32 v0, s8
	v_mov_b32_e32 v1, s9
	s_sleep 1
	global_store_dwordx2 v[4:5], v[2:3], off
	s_waitcnt_vscnt null, 0x0
	global_atomic_cmpswap_x2 v[0:1], v7, v[0:3], s[6:7] offset:32 glc
	s_waitcnt vmcnt(0)
	v_cmp_eq_u64_e32 vcc_lo, v[0:1], v[2:3]
	v_mov_b32_e32 v3, v1
	v_mov_b32_e32 v2, v0
	s_or_b32 s11, vcc_lo, s11
	s_andn2_b32 exec_lo, exec_lo, s11
	s_cbranch_execnz .LBB6_11
.LBB6_12:
	s_or_b32 exec_lo, exec_lo, s10
	v_mov_b32_e32 v3, 0
	s_mov_b32 s11, exec_lo
	s_mov_b32 s10, exec_lo
	v_mbcnt_lo_u32_b32 v2, s11, 0
	global_load_dwordx2 v[0:1], v3, s[6:7] offset:16
	v_cmpx_eq_u32_e32 0, v2
	s_cbranch_execz .LBB6_14
; %bb.13:
	s_bcnt1_i32_b32 s11, s11
	v_mov_b32_e32 v2, s11
	s_waitcnt vmcnt(0)
	global_atomic_add_x2 v[0:1], v[2:3], off offset:8
.LBB6_14:
	s_or_b32 exec_lo, exec_lo, s10
	s_waitcnt vmcnt(0)
	global_load_dwordx2 v[2:3], v[0:1], off offset:16
	s_waitcnt vmcnt(0)
	v_cmp_eq_u64_e32 vcc_lo, 0, v[2:3]
	s_cbranch_vccnz .LBB6_16
; %bb.15:
	global_load_dword v0, v[0:1], off offset:24
	v_mov_b32_e32 v1, 0
	s_waitcnt vmcnt(0)
	v_readfirstlane_b32 s10, v0
	s_waitcnt_vscnt null, 0x0
	global_store_dwordx2 v[2:3], v[0:1], off
	s_and_b32 m0, s10, 0x7fffff
	s_sendmsg sendmsg(MSG_INTERRUPT)
.LBB6_16:
	s_or_b32 exec_lo, exec_lo, s5
	s_branch .LBB6_20
	.p2align	6
.LBB6_17:                               ;   in Loop: Header=BB6_20 Depth=1
	s_or_b32 exec_lo, exec_lo, s5
	v_readfirstlane_b32 s5, v0
	s_cmp_eq_u32 s5, 0
	s_cbranch_scc1 .LBB6_19
; %bb.18:                               ;   in Loop: Header=BB6_20 Depth=1
	s_sleep 1
	s_cbranch_execnz .LBB6_20
	s_branch .LBB6_22
	.p2align	6
.LBB6_19:
	s_branch .LBB6_22
.LBB6_20:                               ; =>This Inner Loop Header: Depth=1
	v_mov_b32_e32 v0, 1
	s_and_saveexec_b32 s5, s4
	s_cbranch_execz .LBB6_17
; %bb.21:                               ;   in Loop: Header=BB6_20 Depth=1
	global_load_dword v0, v[13:14], off offset:20 glc dlc
	s_waitcnt vmcnt(0)
	buffer_gl1_inv
	buffer_gl0_inv
	v_and_b32_e32 v0, 1, v0
	s_branch .LBB6_17
.LBB6_22:
	s_and_saveexec_b32 s10, s4
	s_cbranch_execz .LBB6_26
; %bb.23:
	v_mov_b32_e32 v6, 0
	s_clause 0x2
	global_load_dwordx2 v[0:1], v6, s[6:7] offset:40
	global_load_dwordx2 v[9:10], v6, s[6:7] offset:24 glc dlc
	global_load_dwordx2 v[2:3], v6, s[6:7]
	s_waitcnt vmcnt(2)
	v_readfirstlane_b32 s12, v0
	v_readfirstlane_b32 s13, v1
	s_add_u32 s11, s12, 1
	s_addc_u32 s14, s13, 0
	s_add_u32 s4, s11, s8
	s_addc_u32 s5, s14, s9
	s_cmp_eq_u64 s[4:5], 0
	s_cselect_b32 s5, s14, s5
	s_cselect_b32 s4, s11, s4
	v_mov_b32_e32 v8, s5
	s_and_b64 s[8:9], s[4:5], s[12:13]
	v_mov_b32_e32 v7, s4
	s_mul_i32 s9, s9, 24
	s_mul_hi_u32 s11, s8, 24
	s_mul_i32 s8, s8, 24
	s_add_i32 s11, s11, s9
	s_waitcnt vmcnt(0)
	v_add_co_u32 v4, vcc_lo, v2, s8
	v_add_co_ci_u32_e64 v5, null, s11, v3, vcc_lo
	global_store_dwordx2 v[4:5], v[9:10], off
	s_waitcnt_vscnt null, 0x0
	global_atomic_cmpswap_x2 v[2:3], v6, v[7:10], s[6:7] offset:24 glc
	s_waitcnt vmcnt(0)
	v_cmp_ne_u64_e32 vcc_lo, v[2:3], v[9:10]
	s_and_b32 exec_lo, exec_lo, vcc_lo
	s_cbranch_execz .LBB6_26
; %bb.24:
	s_mov_b32 s8, 0
.LBB6_25:                               ; =>This Inner Loop Header: Depth=1
	v_mov_b32_e32 v0, s4
	v_mov_b32_e32 v1, s5
	s_sleep 1
	global_store_dwordx2 v[4:5], v[2:3], off
	s_waitcnt_vscnt null, 0x0
	global_atomic_cmpswap_x2 v[0:1], v6, v[0:3], s[6:7] offset:24 glc
	s_waitcnt vmcnt(0)
	v_cmp_eq_u64_e32 vcc_lo, v[0:1], v[2:3]
	v_mov_b32_e32 v3, v1
	v_mov_b32_e32 v2, v0
	s_or_b32 s8, vcc_lo, s8
	s_andn2_b32 exec_lo, exec_lo, s8
	s_cbranch_execnz .LBB6_25
.LBB6_26:
	s_or_b32 exec_lo, exec_lo, s10
	s_waitcnt lgkmcnt(0)
	s_setpc_b64 s[30:31]
.Lfunc_end6:
	.size	__ockl_printf_append_args, .Lfunc_end6-__ockl_printf_append_args
                                        ; -- End function
	.set .L__ockl_printf_append_args.num_vgpr, 16
	.set .L__ockl_printf_append_args.num_agpr, 0
	.set .L__ockl_printf_append_args.numbered_sgpr, 32
	.set .L__ockl_printf_append_args.num_named_barrier, 0
	.set .L__ockl_printf_append_args.private_seg_size, 0
	.set .L__ockl_printf_append_args.uses_vcc, 1
	.set .L__ockl_printf_append_args.uses_flat_scratch, 0
	.set .L__ockl_printf_append_args.has_dyn_sized_stack, 0
	.set .L__ockl_printf_append_args.has_recursion, 0
	.set .L__ockl_printf_append_args.has_indirect_call, 0
	.section	.AMDGPU.csdata,"",@progbits
; Function info:
; codeLenInByte = 1380
; TotalNumSgprs: 34
; NumVgprs: 16
; ScratchSize: 0
; MemoryBound: 0
	.text
	.p2align	2                               ; -- Begin function _ZL14no_device_codePKciS0_iS0_
	.type	_ZL14no_device_codePKciS0_iS0_,@function
_ZL14no_device_codePKciS0_iS0_:         ; @_ZL14no_device_codePKciS0_iS0_
; %bb.0:
	s_waitcnt vmcnt(0) expcnt(0) lgkmcnt(0)
	s_mov_b32 s24, s33
	s_mov_b32 s33, s32
	s_xor_saveexec_b32 s4, -1
	buffer_store_dword v39, off, s[0:3], s33 ; 4-byte Folded Spill
	s_mov_b32 exec_lo, s4
	v_writelane_b32 v39, s30, 0
	s_addk_i32 s32, 0x200
	v_writelane_b32 v39, s31, 1
	s_load_dwordx2 s[6:7], s[8:9], 0x50
	v_mbcnt_lo_u32_b32 v29, -1, 0
	v_mov_b32_e32 v6, 0
	v_mov_b32_e32 v7, 0
	v_readfirstlane_b32 s4, v29
	v_cmp_eq_u32_e64 s4, s4, v29
	s_and_saveexec_b32 s5, s4
	s_cbranch_execz .LBB7_6
; %bb.1:
	v_mov_b32_e32 v0, 0
	s_mov_b32 s10, exec_lo
	s_waitcnt lgkmcnt(0)
	global_load_dwordx2 v[3:4], v0, s[6:7] offset:24 glc dlc
	s_waitcnt vmcnt(0)
	buffer_gl1_inv
	buffer_gl0_inv
	s_clause 0x1
	global_load_dwordx2 v[1:2], v0, s[6:7] offset:40
	global_load_dwordx2 v[5:6], v0, s[6:7]
	s_waitcnt vmcnt(1)
	v_and_b32_e32 v2, v2, v4
	v_and_b32_e32 v1, v1, v3
	v_mul_lo_u32 v2, v2, 24
	v_mul_hi_u32 v7, v1, 24
	v_mul_lo_u32 v1, v1, 24
	v_add_nc_u32_e32 v2, v7, v2
	s_waitcnt vmcnt(0)
	v_add_co_u32 v1, vcc_lo, v5, v1
	v_add_co_ci_u32_e64 v2, null, v6, v2, vcc_lo
	global_load_dwordx2 v[1:2], v[1:2], off glc dlc
	s_waitcnt vmcnt(0)
	global_atomic_cmpswap_x2 v[6:7], v0, v[1:4], s[6:7] offset:24 glc
	s_waitcnt vmcnt(0)
	buffer_gl1_inv
	buffer_gl0_inv
	v_cmpx_ne_u64_e64 v[6:7], v[3:4]
	s_cbranch_execz .LBB7_5
; %bb.2:
	s_mov_b32 s11, 0
	.p2align	6
.LBB7_3:                                ; =>This Inner Loop Header: Depth=1
	s_sleep 1
	s_clause 0x1
	global_load_dwordx2 v[1:2], v0, s[6:7] offset:40
	global_load_dwordx2 v[8:9], v0, s[6:7]
	v_mov_b32_e32 v3, v6
	v_mov_b32_e32 v4, v7
	s_waitcnt vmcnt(1)
	v_and_b32_e32 v1, v1, v3
	v_and_b32_e32 v2, v2, v4
	s_waitcnt vmcnt(0)
	v_mad_u64_u32 v[5:6], null, v1, 24, v[8:9]
	v_mov_b32_e32 v1, v6
	v_mad_u64_u32 v[1:2], null, v2, 24, v[1:2]
	v_mov_b32_e32 v6, v1
	global_load_dwordx2 v[1:2], v[5:6], off glc dlc
	s_waitcnt vmcnt(0)
	global_atomic_cmpswap_x2 v[6:7], v0, v[1:4], s[6:7] offset:24 glc
	s_waitcnt vmcnt(0)
	buffer_gl1_inv
	buffer_gl0_inv
	v_cmp_eq_u64_e32 vcc_lo, v[6:7], v[3:4]
	s_or_b32 s11, vcc_lo, s11
	s_andn2_b32 exec_lo, exec_lo, s11
	s_cbranch_execnz .LBB7_3
; %bb.4:
	s_or_b32 exec_lo, exec_lo, s11
.LBB7_5:
	s_or_b32 exec_lo, exec_lo, s10
.LBB7_6:
	s_or_b32 exec_lo, exec_lo, s5
	v_mov_b32_e32 v5, 0
	v_readfirstlane_b32 s11, v7
	v_readfirstlane_b32 s10, v6
	s_mov_b32 s5, exec_lo
	s_waitcnt lgkmcnt(0)
	s_clause 0x1
	global_load_dwordx2 v[8:9], v5, s[6:7] offset:40
	global_load_dwordx4 v[0:3], v5, s[6:7]
	s_waitcnt vmcnt(1)
	v_readfirstlane_b32 s12, v8
	v_readfirstlane_b32 s13, v9
	s_and_b64 s[12:13], s[12:13], s[10:11]
	s_mul_i32 s14, s13, 24
	s_mul_hi_u32 s15, s12, 24
	s_mul_i32 s16, s12, 24
	s_add_i32 s15, s15, s14
	s_waitcnt vmcnt(0)
	v_add_co_u32 v8, vcc_lo, v0, s16
	v_add_co_ci_u32_e64 v9, null, s15, v1, vcc_lo
	s_and_saveexec_b32 s14, s4
	s_cbranch_execz .LBB7_8
; %bb.7:
	v_mov_b32_e32 v4, s5
	v_mov_b32_e32 v6, 2
	;; [unrolled: 1-line block ×3, first 2 shown]
	global_store_dwordx4 v[8:9], v[4:7], off offset:8
.LBB7_8:
	s_or_b32 exec_lo, exec_lo, s14
	s_lshl_b64 s[12:13], s[12:13], 12
	v_lshlrev_b32_e32 v28, 6, v29
	v_add_co_u32 v2, vcc_lo, v2, s12
	v_add_co_ci_u32_e64 v3, null, s13, v3, vcc_lo
	s_mov_b32 s12, 0
	v_add_co_u32 v10, vcc_lo, v2, v28
	s_mov_b32 s13, s12
	s_mov_b32 s14, s12
	;; [unrolled: 1-line block ×3, first 2 shown]
	v_mov_b32_e32 v4, 33
	v_mov_b32_e32 v6, v5
	;; [unrolled: 1-line block ×3, first 2 shown]
	v_readfirstlane_b32 s16, v2
	v_readfirstlane_b32 s17, v3
	v_mov_b32_e32 v12, s12
	v_add_co_ci_u32_e64 v11, null, 0, v3, vcc_lo
	v_mov_b32_e32 v13, s13
	v_mov_b32_e32 v14, s14
	;; [unrolled: 1-line block ×3, first 2 shown]
	global_store_dwordx4 v28, v[4:7], s[16:17]
	global_store_dwordx4 v28, v[12:15], s[16:17] offset:16
	global_store_dwordx4 v28, v[12:15], s[16:17] offset:32
	;; [unrolled: 1-line block ×3, first 2 shown]
	s_and_saveexec_b32 s5, s4
	s_cbranch_execz .LBB7_16
; %bb.9:
	v_mov_b32_e32 v6, 0
	v_mov_b32_e32 v12, s10
	;; [unrolled: 1-line block ×3, first 2 shown]
	s_mov_b32 s12, exec_lo
	s_clause 0x1
	global_load_dwordx2 v[14:15], v6, s[6:7] offset:32 glc dlc
	global_load_dwordx2 v[2:3], v6, s[6:7] offset:40
	s_waitcnt vmcnt(0)
	v_and_b32_e32 v3, s11, v3
	v_and_b32_e32 v2, s10, v2
	v_mul_lo_u32 v3, v3, 24
	v_mul_hi_u32 v4, v2, 24
	v_mul_lo_u32 v2, v2, 24
	v_add_nc_u32_e32 v3, v4, v3
	v_add_co_u32 v4, vcc_lo, v0, v2
	v_add_co_ci_u32_e64 v5, null, v1, v3, vcc_lo
	global_store_dwordx2 v[4:5], v[14:15], off
	s_waitcnt_vscnt null, 0x0
	global_atomic_cmpswap_x2 v[2:3], v6, v[12:15], s[6:7] offset:32 glc
	s_waitcnt vmcnt(0)
	v_cmpx_ne_u64_e64 v[2:3], v[14:15]
	s_cbranch_execz .LBB7_12
; %bb.10:
	s_mov_b32 s13, 0
.LBB7_11:                               ; =>This Inner Loop Header: Depth=1
	v_mov_b32_e32 v0, s10
	v_mov_b32_e32 v1, s11
	s_sleep 1
	global_store_dwordx2 v[4:5], v[2:3], off
	s_waitcnt_vscnt null, 0x0
	global_atomic_cmpswap_x2 v[0:1], v6, v[0:3], s[6:7] offset:32 glc
	s_waitcnt vmcnt(0)
	v_cmp_eq_u64_e32 vcc_lo, v[0:1], v[2:3]
	v_mov_b32_e32 v3, v1
	v_mov_b32_e32 v2, v0
	s_or_b32 s13, vcc_lo, s13
	s_andn2_b32 exec_lo, exec_lo, s13
	s_cbranch_execnz .LBB7_11
.LBB7_12:
	s_or_b32 exec_lo, exec_lo, s12
	v_mov_b32_e32 v3, 0
	s_mov_b32 s13, exec_lo
	s_mov_b32 s12, exec_lo
	v_mbcnt_lo_u32_b32 v2, s13, 0
	global_load_dwordx2 v[0:1], v3, s[6:7] offset:16
	v_cmpx_eq_u32_e32 0, v2
	s_cbranch_execz .LBB7_14
; %bb.13:
	s_bcnt1_i32_b32 s13, s13
	v_mov_b32_e32 v2, s13
	s_waitcnt vmcnt(0)
	global_atomic_add_x2 v[0:1], v[2:3], off offset:8
.LBB7_14:
	s_or_b32 exec_lo, exec_lo, s12
	s_waitcnt vmcnt(0)
	global_load_dwordx2 v[2:3], v[0:1], off offset:16
	s_waitcnt vmcnt(0)
	v_cmp_eq_u64_e32 vcc_lo, 0, v[2:3]
	s_cbranch_vccnz .LBB7_16
; %bb.15:
	global_load_dword v0, v[0:1], off offset:24
	v_mov_b32_e32 v1, 0
	s_waitcnt vmcnt(0)
	v_readfirstlane_b32 s12, v0
	s_waitcnt_vscnt null, 0x0
	global_store_dwordx2 v[2:3], v[0:1], off
	s_and_b32 m0, s12, 0x7fffff
	s_sendmsg sendmsg(MSG_INTERRUPT)
.LBB7_16:
	s_or_b32 exec_lo, exec_lo, s5
	s_branch .LBB7_20
	.p2align	6
.LBB7_17:                               ;   in Loop: Header=BB7_20 Depth=1
	s_or_b32 exec_lo, exec_lo, s5
	v_readfirstlane_b32 s5, v0
	s_cmp_eq_u32 s5, 0
	s_cbranch_scc1 .LBB7_19
; %bb.18:                               ;   in Loop: Header=BB7_20 Depth=1
	s_sleep 1
	s_cbranch_execnz .LBB7_20
	s_branch .LBB7_22
	.p2align	6
.LBB7_19:
	s_branch .LBB7_22
.LBB7_20:                               ; =>This Inner Loop Header: Depth=1
	v_mov_b32_e32 v0, 1
	s_and_saveexec_b32 s5, s4
	s_cbranch_execz .LBB7_17
; %bb.21:                               ;   in Loop: Header=BB7_20 Depth=1
	global_load_dword v0, v[8:9], off offset:20 glc dlc
	s_waitcnt vmcnt(0)
	buffer_gl1_inv
	buffer_gl0_inv
	v_and_b32_e32 v0, 1, v0
	s_branch .LBB7_17
.LBB7_22:
	global_load_dwordx2 v[4:5], v[10:11], off
	s_and_saveexec_b32 s12, s4
	s_cbranch_execz .LBB7_26
; %bb.23:
	v_mov_b32_e32 v8, 0
	s_clause 0x2
	global_load_dwordx2 v[0:1], v8, s[6:7] offset:40
	global_load_dwordx2 v[11:12], v8, s[6:7] offset:24 glc dlc
	global_load_dwordx2 v[2:3], v8, s[6:7]
	s_waitcnt vmcnt(2)
	v_readfirstlane_b32 s14, v0
	v_readfirstlane_b32 s15, v1
	s_add_u32 s13, s14, 1
	s_addc_u32 s16, s15, 0
	s_add_u32 s4, s13, s10
	s_addc_u32 s5, s16, s11
	s_cmp_eq_u64 s[4:5], 0
	s_cselect_b32 s5, s16, s5
	s_cselect_b32 s4, s13, s4
	v_mov_b32_e32 v10, s5
	s_and_b64 s[10:11], s[4:5], s[14:15]
	v_mov_b32_e32 v9, s4
	s_mul_i32 s11, s11, 24
	s_mul_hi_u32 s13, s10, 24
	s_mul_i32 s10, s10, 24
	s_add_i32 s13, s13, s11
	s_waitcnt vmcnt(0)
	v_add_co_u32 v6, vcc_lo, v2, s10
	v_add_co_ci_u32_e64 v7, null, s13, v3, vcc_lo
	global_store_dwordx2 v[6:7], v[11:12], off
	s_waitcnt_vscnt null, 0x0
	global_atomic_cmpswap_x2 v[2:3], v8, v[9:12], s[6:7] offset:24 glc
	s_waitcnt vmcnt(0)
	v_cmp_ne_u64_e32 vcc_lo, v[2:3], v[11:12]
	s_and_b32 exec_lo, exec_lo, vcc_lo
	s_cbranch_execz .LBB7_26
; %bb.24:
	s_mov_b32 s10, 0
.LBB7_25:                               ; =>This Inner Loop Header: Depth=1
	v_mov_b32_e32 v0, s4
	v_mov_b32_e32 v1, s5
	s_sleep 1
	global_store_dwordx2 v[6:7], v[2:3], off
	s_waitcnt_vscnt null, 0x0
	global_atomic_cmpswap_x2 v[0:1], v8, v[0:3], s[6:7] offset:24 glc
	s_waitcnt vmcnt(0)
	v_cmp_eq_u64_e32 vcc_lo, v[0:1], v[2:3]
	v_mov_b32_e32 v3, v1
	v_mov_b32_e32 v2, v0
	s_or_b32 s10, vcc_lo, s10
	s_andn2_b32 exec_lo, exec_lo, s10
	s_cbranch_execnz .LBB7_25
.LBB7_26:
	s_or_b32 exec_lo, exec_lo, s12
	s_getpc_b64 s[10:11]
	s_add_u32 s10, s10, .str.5@rel32@lo+4
	s_addc_u32 s11, s11, .str.5@rel32@hi+12
	s_cmp_lg_u64 s[10:11], 0
	s_cbranch_scc0 .LBB7_104
; %bb.27:
	s_waitcnt vmcnt(0)
	v_and_b32_e32 v30, 2, v4
	v_mov_b32_e32 v7, 0
	v_and_b32_e32 v0, -3, v4
	v_mov_b32_e32 v1, v5
	v_mov_b32_e32 v8, 2
	;; [unrolled: 1-line block ×3, first 2 shown]
	s_mov_b64 s[12:13], 0x4d
	s_branch .LBB7_29
.LBB7_28:                               ;   in Loop: Header=BB7_29 Depth=1
	s_or_b32 exec_lo, exec_lo, s18
	s_sub_u32 s12, s12, s14
	s_subb_u32 s13, s13, s15
	s_add_u32 s10, s10, s14
	s_addc_u32 s11, s11, s15
	s_cmp_lg_u64 s[12:13], 0
	s_cbranch_scc0 .LBB7_105
.LBB7_29:                               ; =>This Loop Header: Depth=1
                                        ;     Child Loop BB7_32 Depth 2
                                        ;     Child Loop BB7_39 Depth 2
	;; [unrolled: 1-line block ×11, first 2 shown]
	v_cmp_lt_u64_e64 s4, s[12:13], 56
	v_cmp_gt_u64_e64 s16, s[12:13], 7
	s_and_b32 s4, s4, exec_lo
	s_cselect_b32 s15, s13, 0
	s_cselect_b32 s14, s12, 56
	s_add_u32 s4, s10, 8
	s_addc_u32 s5, s11, 0
	s_and_b32 vcc_lo, exec_lo, s16
	s_cbranch_vccnz .LBB7_34
; %bb.30:                               ;   in Loop: Header=BB7_29 Depth=1
	v_mov_b32_e32 v2, 0
	v_mov_b32_e32 v3, 0
	s_cmp_eq_u64 s[12:13], 0
	s_cbranch_scc1 .LBB7_33
; %bb.31:                               ;   in Loop: Header=BB7_29 Depth=1
	s_lshl_b64 s[4:5], s[14:15], 3
	s_mov_b64 s[16:17], 0
	s_mov_b64 s[18:19], s[10:11]
.LBB7_32:                               ;   Parent Loop BB7_29 Depth=1
                                        ; =>  This Inner Loop Header: Depth=2
	global_load_ubyte v6, v7, s[18:19]
	s_waitcnt vmcnt(0)
	v_and_b32_e32 v6, 0xffff, v6
	v_lshlrev_b64 v[10:11], s16, v[6:7]
	s_add_u32 s16, s16, 8
	s_addc_u32 s17, s17, 0
	s_add_u32 s18, s18, 1
	s_addc_u32 s19, s19, 0
	s_cmp_lg_u32 s4, s16
	v_or_b32_e32 v2, v10, v2
	v_or_b32_e32 v3, v11, v3
	s_cbranch_scc1 .LBB7_32
.LBB7_33:                               ;   in Loop: Header=BB7_29 Depth=1
	s_mov_b64 s[4:5], s[10:11]
	s_mov_b32 s20, 0
	s_cbranch_execz .LBB7_35
	s_branch .LBB7_36
.LBB7_34:                               ;   in Loop: Header=BB7_29 Depth=1
	s_mov_b32 s20, 0
.LBB7_35:                               ;   in Loop: Header=BB7_29 Depth=1
	global_load_dwordx2 v[2:3], v7, s[10:11]
	s_add_i32 s20, s14, -8
.LBB7_36:                               ;   in Loop: Header=BB7_29 Depth=1
	s_add_u32 s16, s4, 8
	s_addc_u32 s17, s5, 0
	s_cmp_gt_u32 s20, 7
	s_cbranch_scc1 .LBB7_41
; %bb.37:                               ;   in Loop: Header=BB7_29 Depth=1
	v_mov_b32_e32 v10, 0
	v_mov_b32_e32 v11, 0
	s_cmp_eq_u32 s20, 0
	s_cbranch_scc1 .LBB7_40
; %bb.38:                               ;   in Loop: Header=BB7_29 Depth=1
	s_mov_b64 s[16:17], 0
	s_mov_b64 s[18:19], 0
.LBB7_39:                               ;   Parent Loop BB7_29 Depth=1
                                        ; =>  This Inner Loop Header: Depth=2
	s_add_u32 s22, s4, s18
	s_addc_u32 s23, s5, s19
	s_add_u32 s18, s18, 1
	global_load_ubyte v6, v7, s[22:23]
	s_addc_u32 s19, s19, 0
	s_waitcnt vmcnt(0)
	v_and_b32_e32 v6, 0xffff, v6
	v_lshlrev_b64 v[12:13], s16, v[6:7]
	s_add_u32 s16, s16, 8
	s_addc_u32 s17, s17, 0
	s_cmp_lg_u32 s20, s18
	v_or_b32_e32 v10, v12, v10
	v_or_b32_e32 v11, v13, v11
	s_cbranch_scc1 .LBB7_39
.LBB7_40:                               ;   in Loop: Header=BB7_29 Depth=1
	s_mov_b64 s[16:17], s[4:5]
	s_mov_b32 s21, 0
	s_cbranch_execz .LBB7_42
	s_branch .LBB7_43
.LBB7_41:                               ;   in Loop: Header=BB7_29 Depth=1
                                        ; implicit-def: $vgpr10_vgpr11
	s_mov_b32 s21, 0
.LBB7_42:                               ;   in Loop: Header=BB7_29 Depth=1
	global_load_dwordx2 v[10:11], v7, s[4:5]
	s_add_i32 s21, s20, -8
.LBB7_43:                               ;   in Loop: Header=BB7_29 Depth=1
	s_add_u32 s4, s16, 8
	s_addc_u32 s5, s17, 0
	s_cmp_gt_u32 s21, 7
	s_cbranch_scc1 .LBB7_48
; %bb.44:                               ;   in Loop: Header=BB7_29 Depth=1
	v_mov_b32_e32 v12, 0
	v_mov_b32_e32 v13, 0
	s_cmp_eq_u32 s21, 0
	s_cbranch_scc1 .LBB7_47
; %bb.45:                               ;   in Loop: Header=BB7_29 Depth=1
	s_mov_b64 s[4:5], 0
	s_mov_b64 s[18:19], 0
.LBB7_46:                               ;   Parent Loop BB7_29 Depth=1
                                        ; =>  This Inner Loop Header: Depth=2
	s_add_u32 s22, s16, s18
	s_addc_u32 s23, s17, s19
	s_add_u32 s18, s18, 1
	global_load_ubyte v6, v7, s[22:23]
	s_addc_u32 s19, s19, 0
	s_waitcnt vmcnt(0)
	v_and_b32_e32 v6, 0xffff, v6
	v_lshlrev_b64 v[14:15], s4, v[6:7]
	s_add_u32 s4, s4, 8
	s_addc_u32 s5, s5, 0
	s_cmp_lg_u32 s21, s18
	v_or_b32_e32 v12, v14, v12
	v_or_b32_e32 v13, v15, v13
	s_cbranch_scc1 .LBB7_46
.LBB7_47:                               ;   in Loop: Header=BB7_29 Depth=1
	s_mov_b64 s[4:5], s[16:17]
	s_mov_b32 s20, 0
	s_cbranch_execz .LBB7_49
	s_branch .LBB7_50
.LBB7_48:                               ;   in Loop: Header=BB7_29 Depth=1
	s_mov_b32 s20, 0
.LBB7_49:                               ;   in Loop: Header=BB7_29 Depth=1
	global_load_dwordx2 v[12:13], v7, s[16:17]
	s_add_i32 s20, s21, -8
.LBB7_50:                               ;   in Loop: Header=BB7_29 Depth=1
	s_add_u32 s16, s4, 8
	s_addc_u32 s17, s5, 0
	s_cmp_gt_u32 s20, 7
	s_cbranch_scc1 .LBB7_55
; %bb.51:                               ;   in Loop: Header=BB7_29 Depth=1
	v_mov_b32_e32 v14, 0
	v_mov_b32_e32 v15, 0
	s_cmp_eq_u32 s20, 0
	s_cbranch_scc1 .LBB7_54
; %bb.52:                               ;   in Loop: Header=BB7_29 Depth=1
	s_mov_b64 s[16:17], 0
	s_mov_b64 s[18:19], 0
.LBB7_53:                               ;   Parent Loop BB7_29 Depth=1
                                        ; =>  This Inner Loop Header: Depth=2
	s_add_u32 s22, s4, s18
	s_addc_u32 s23, s5, s19
	s_add_u32 s18, s18, 1
	global_load_ubyte v6, v7, s[22:23]
	s_addc_u32 s19, s19, 0
	s_waitcnt vmcnt(0)
	v_and_b32_e32 v6, 0xffff, v6
	v_lshlrev_b64 v[16:17], s16, v[6:7]
	s_add_u32 s16, s16, 8
	s_addc_u32 s17, s17, 0
	s_cmp_lg_u32 s20, s18
	v_or_b32_e32 v14, v16, v14
	v_or_b32_e32 v15, v17, v15
	s_cbranch_scc1 .LBB7_53
.LBB7_54:                               ;   in Loop: Header=BB7_29 Depth=1
	s_mov_b64 s[16:17], s[4:5]
	s_mov_b32 s21, 0
	s_cbranch_execz .LBB7_56
	s_branch .LBB7_57
.LBB7_55:                               ;   in Loop: Header=BB7_29 Depth=1
                                        ; implicit-def: $vgpr14_vgpr15
	s_mov_b32 s21, 0
.LBB7_56:                               ;   in Loop: Header=BB7_29 Depth=1
	global_load_dwordx2 v[14:15], v7, s[4:5]
	s_add_i32 s21, s20, -8
.LBB7_57:                               ;   in Loop: Header=BB7_29 Depth=1
	s_add_u32 s4, s16, 8
	s_addc_u32 s5, s17, 0
	s_cmp_gt_u32 s21, 7
	s_cbranch_scc1 .LBB7_62
; %bb.58:                               ;   in Loop: Header=BB7_29 Depth=1
	v_mov_b32_e32 v16, 0
	v_mov_b32_e32 v17, 0
	s_cmp_eq_u32 s21, 0
	s_cbranch_scc1 .LBB7_61
; %bb.59:                               ;   in Loop: Header=BB7_29 Depth=1
	s_mov_b64 s[4:5], 0
	s_mov_b64 s[18:19], 0
.LBB7_60:                               ;   Parent Loop BB7_29 Depth=1
                                        ; =>  This Inner Loop Header: Depth=2
	s_add_u32 s22, s16, s18
	s_addc_u32 s23, s17, s19
	s_add_u32 s18, s18, 1
	global_load_ubyte v6, v7, s[22:23]
	s_addc_u32 s19, s19, 0
	s_waitcnt vmcnt(0)
	v_and_b32_e32 v6, 0xffff, v6
	v_lshlrev_b64 v[18:19], s4, v[6:7]
	s_add_u32 s4, s4, 8
	s_addc_u32 s5, s5, 0
	s_cmp_lg_u32 s21, s18
	v_or_b32_e32 v16, v18, v16
	v_or_b32_e32 v17, v19, v17
	s_cbranch_scc1 .LBB7_60
.LBB7_61:                               ;   in Loop: Header=BB7_29 Depth=1
	s_mov_b64 s[4:5], s[16:17]
	s_mov_b32 s20, 0
	s_cbranch_execz .LBB7_63
	s_branch .LBB7_64
.LBB7_62:                               ;   in Loop: Header=BB7_29 Depth=1
	s_mov_b32 s20, 0
.LBB7_63:                               ;   in Loop: Header=BB7_29 Depth=1
	global_load_dwordx2 v[16:17], v7, s[16:17]
	s_add_i32 s20, s21, -8
.LBB7_64:                               ;   in Loop: Header=BB7_29 Depth=1
	s_add_u32 s16, s4, 8
	s_addc_u32 s17, s5, 0
	s_cmp_gt_u32 s20, 7
	s_cbranch_scc1 .LBB7_69
; %bb.65:                               ;   in Loop: Header=BB7_29 Depth=1
	v_mov_b32_e32 v18, 0
	v_mov_b32_e32 v19, 0
	s_cmp_eq_u32 s20, 0
	s_cbranch_scc1 .LBB7_68
; %bb.66:                               ;   in Loop: Header=BB7_29 Depth=1
	s_mov_b64 s[16:17], 0
	s_mov_b64 s[18:19], 0
.LBB7_67:                               ;   Parent Loop BB7_29 Depth=1
                                        ; =>  This Inner Loop Header: Depth=2
	s_add_u32 s22, s4, s18
	s_addc_u32 s23, s5, s19
	s_add_u32 s18, s18, 1
	global_load_ubyte v6, v7, s[22:23]
	s_addc_u32 s19, s19, 0
	s_waitcnt vmcnt(0)
	v_and_b32_e32 v6, 0xffff, v6
	v_lshlrev_b64 v[20:21], s16, v[6:7]
	s_add_u32 s16, s16, 8
	s_addc_u32 s17, s17, 0
	s_cmp_lg_u32 s20, s18
	v_or_b32_e32 v18, v20, v18
	v_or_b32_e32 v19, v21, v19
	s_cbranch_scc1 .LBB7_67
.LBB7_68:                               ;   in Loop: Header=BB7_29 Depth=1
	s_mov_b64 s[16:17], s[4:5]
	s_mov_b32 s21, 0
	s_cbranch_execz .LBB7_70
	s_branch .LBB7_71
.LBB7_69:                               ;   in Loop: Header=BB7_29 Depth=1
                                        ; implicit-def: $vgpr18_vgpr19
	s_mov_b32 s21, 0
.LBB7_70:                               ;   in Loop: Header=BB7_29 Depth=1
	global_load_dwordx2 v[18:19], v7, s[4:5]
	s_add_i32 s21, s20, -8
.LBB7_71:                               ;   in Loop: Header=BB7_29 Depth=1
	s_cmp_gt_u32 s21, 7
	s_cbranch_scc1 .LBB7_76
; %bb.72:                               ;   in Loop: Header=BB7_29 Depth=1
	v_mov_b32_e32 v20, 0
	v_mov_b32_e32 v21, 0
	s_cmp_eq_u32 s21, 0
	s_cbranch_scc1 .LBB7_75
; %bb.73:                               ;   in Loop: Header=BB7_29 Depth=1
	s_mov_b64 s[4:5], 0
	s_mov_b64 s[18:19], s[16:17]
.LBB7_74:                               ;   Parent Loop BB7_29 Depth=1
                                        ; =>  This Inner Loop Header: Depth=2
	global_load_ubyte v6, v7, s[18:19]
	s_add_i32 s21, s21, -1
	s_waitcnt vmcnt(0)
	v_and_b32_e32 v6, 0xffff, v6
	v_lshlrev_b64 v[22:23], s4, v[6:7]
	s_add_u32 s4, s4, 8
	s_addc_u32 s5, s5, 0
	s_add_u32 s18, s18, 1
	s_addc_u32 s19, s19, 0
	s_cmp_lg_u32 s21, 0
	v_or_b32_e32 v20, v22, v20
	v_or_b32_e32 v21, v23, v21
	s_cbranch_scc1 .LBB7_74
.LBB7_75:                               ;   in Loop: Header=BB7_29 Depth=1
	s_cbranch_execz .LBB7_77
	s_branch .LBB7_78
.LBB7_76:                               ;   in Loop: Header=BB7_29 Depth=1
.LBB7_77:                               ;   in Loop: Header=BB7_29 Depth=1
	global_load_dwordx2 v[20:21], v7, s[16:17]
.LBB7_78:                               ;   in Loop: Header=BB7_29 Depth=1
	v_readfirstlane_b32 s4, v29
	v_mov_b32_e32 v26, 0
	v_mov_b32_e32 v27, 0
	v_cmp_eq_u32_e64 s4, s4, v29
	s_and_saveexec_b32 s5, s4
	s_cbranch_execz .LBB7_84
; %bb.79:                               ;   in Loop: Header=BB7_29 Depth=1
	global_load_dwordx2 v[24:25], v7, s[6:7] offset:24 glc dlc
	s_waitcnt vmcnt(0)
	buffer_gl1_inv
	buffer_gl0_inv
	s_clause 0x1
	global_load_dwordx2 v[22:23], v7, s[6:7] offset:40
	global_load_dwordx2 v[26:27], v7, s[6:7]
	s_mov_b32 s16, exec_lo
	s_waitcnt vmcnt(1)
	v_and_b32_e32 v6, v23, v25
	v_and_b32_e32 v22, v22, v24
	v_mul_lo_u32 v6, v6, 24
	v_mul_hi_u32 v23, v22, 24
	v_mul_lo_u32 v22, v22, 24
	v_add_nc_u32_e32 v6, v23, v6
	s_waitcnt vmcnt(0)
	v_add_co_u32 v22, vcc_lo, v26, v22
	v_add_co_ci_u32_e64 v23, null, v27, v6, vcc_lo
	global_load_dwordx2 v[22:23], v[22:23], off glc dlc
	s_waitcnt vmcnt(0)
	global_atomic_cmpswap_x2 v[26:27], v7, v[22:25], s[6:7] offset:24 glc
	s_waitcnt vmcnt(0)
	buffer_gl1_inv
	buffer_gl0_inv
	v_cmpx_ne_u64_e64 v[26:27], v[24:25]
	s_cbranch_execz .LBB7_83
; %bb.80:                               ;   in Loop: Header=BB7_29 Depth=1
	s_mov_b32 s17, 0
	.p2align	6
.LBB7_81:                               ;   Parent Loop BB7_29 Depth=1
                                        ; =>  This Inner Loop Header: Depth=2
	s_sleep 1
	s_clause 0x1
	global_load_dwordx2 v[22:23], v7, s[6:7] offset:40
	global_load_dwordx2 v[31:32], v7, s[6:7]
	v_mov_b32_e32 v24, v26
	v_mov_b32_e32 v25, v27
	s_waitcnt vmcnt(1)
	v_and_b32_e32 v6, v22, v24
	v_and_b32_e32 v22, v23, v25
	s_waitcnt vmcnt(0)
	v_mad_u64_u32 v[26:27], null, v6, 24, v[31:32]
	v_mov_b32_e32 v6, v27
	v_mad_u64_u32 v[22:23], null, v22, 24, v[6:7]
	v_mov_b32_e32 v27, v22
	global_load_dwordx2 v[22:23], v[26:27], off glc dlc
	s_waitcnt vmcnt(0)
	global_atomic_cmpswap_x2 v[26:27], v7, v[22:25], s[6:7] offset:24 glc
	s_waitcnt vmcnt(0)
	buffer_gl1_inv
	buffer_gl0_inv
	v_cmp_eq_u64_e32 vcc_lo, v[26:27], v[24:25]
	s_or_b32 s17, vcc_lo, s17
	s_andn2_b32 exec_lo, exec_lo, s17
	s_cbranch_execnz .LBB7_81
; %bb.82:                               ;   in Loop: Header=BB7_29 Depth=1
	s_or_b32 exec_lo, exec_lo, s17
.LBB7_83:                               ;   in Loop: Header=BB7_29 Depth=1
	s_or_b32 exec_lo, exec_lo, s16
.LBB7_84:                               ;   in Loop: Header=BB7_29 Depth=1
	s_or_b32 exec_lo, exec_lo, s5
	s_clause 0x1
	global_load_dwordx2 v[31:32], v7, s[6:7] offset:40
	global_load_dwordx4 v[22:25], v7, s[6:7]
	v_readfirstlane_b32 s17, v27
	v_readfirstlane_b32 s16, v26
	s_mov_b32 s5, exec_lo
	s_waitcnt vmcnt(1)
	v_readfirstlane_b32 s18, v31
	v_readfirstlane_b32 s19, v32
	s_and_b64 s[18:19], s[18:19], s[16:17]
	s_mul_i32 s20, s19, 24
	s_mul_hi_u32 s21, s18, 24
	s_mul_i32 s22, s18, 24
	s_add_i32 s21, s21, s20
	s_waitcnt vmcnt(0)
	v_add_co_u32 v26, vcc_lo, v22, s22
	v_add_co_ci_u32_e64 v27, null, s21, v23, vcc_lo
	s_and_saveexec_b32 s20, s4
	s_cbranch_execz .LBB7_86
; %bb.85:                               ;   in Loop: Header=BB7_29 Depth=1
	v_mov_b32_e32 v6, s5
	global_store_dwordx4 v[26:27], v[6:9], off offset:8
.LBB7_86:                               ;   in Loop: Header=BB7_29 Depth=1
	s_or_b32 exec_lo, exec_lo, s20
	v_cmp_lt_u64_e64 vcc_lo, s[12:13], 57
	s_lshl_b64 s[18:19], s[18:19], 12
	v_and_b32_e32 v0, 0xffffff1f, v0
	s_lshl_b32 s5, s14, 2
	s_add_i32 s5, s5, 28
	v_cndmask_b32_e32 v6, 0, v30, vcc_lo
	v_add_co_u32 v24, vcc_lo, v24, s18
	v_add_co_ci_u32_e64 v25, null, s19, v25, vcc_lo
	v_or_b32_e32 v0, v0, v6
	v_readfirstlane_b32 s18, v24
	v_readfirstlane_b32 s19, v25
	v_and_or_b32 v0, 0x1e0, s5, v0
	global_store_dwordx4 v28, v[10:13], s[18:19] offset:16
	global_store_dwordx4 v28, v[0:3], s[18:19]
	global_store_dwordx4 v28, v[14:17], s[18:19] offset:32
	global_store_dwordx4 v28, v[18:21], s[18:19] offset:48
	s_and_saveexec_b32 s5, s4
	s_cbranch_execz .LBB7_94
; %bb.87:                               ;   in Loop: Header=BB7_29 Depth=1
	s_clause 0x1
	global_load_dwordx2 v[14:15], v7, s[6:7] offset:32 glc dlc
	global_load_dwordx2 v[0:1], v7, s[6:7] offset:40
	v_mov_b32_e32 v12, s16
	v_mov_b32_e32 v13, s17
	s_waitcnt vmcnt(0)
	v_readfirstlane_b32 s18, v0
	v_readfirstlane_b32 s19, v1
	s_and_b64 s[18:19], s[18:19], s[16:17]
	s_mul_i32 s19, s19, 24
	s_mul_hi_u32 s20, s18, 24
	s_mul_i32 s18, s18, 24
	s_add_i32 s20, s20, s19
	v_add_co_u32 v10, vcc_lo, v22, s18
	v_add_co_ci_u32_e64 v11, null, s20, v23, vcc_lo
	s_mov_b32 s18, exec_lo
	global_store_dwordx2 v[10:11], v[14:15], off
	s_waitcnt_vscnt null, 0x0
	global_atomic_cmpswap_x2 v[2:3], v7, v[12:15], s[6:7] offset:32 glc
	s_waitcnt vmcnt(0)
	v_cmpx_ne_u64_e64 v[2:3], v[14:15]
	s_cbranch_execz .LBB7_90
; %bb.88:                               ;   in Loop: Header=BB7_29 Depth=1
	s_mov_b32 s19, 0
.LBB7_89:                               ;   Parent Loop BB7_29 Depth=1
                                        ; =>  This Inner Loop Header: Depth=2
	v_mov_b32_e32 v0, s16
	v_mov_b32_e32 v1, s17
	s_sleep 1
	global_store_dwordx2 v[10:11], v[2:3], off
	s_waitcnt_vscnt null, 0x0
	global_atomic_cmpswap_x2 v[0:1], v7, v[0:3], s[6:7] offset:32 glc
	s_waitcnt vmcnt(0)
	v_cmp_eq_u64_e32 vcc_lo, v[0:1], v[2:3]
	v_mov_b32_e32 v3, v1
	v_mov_b32_e32 v2, v0
	s_or_b32 s19, vcc_lo, s19
	s_andn2_b32 exec_lo, exec_lo, s19
	s_cbranch_execnz .LBB7_89
.LBB7_90:                               ;   in Loop: Header=BB7_29 Depth=1
	s_or_b32 exec_lo, exec_lo, s18
	global_load_dwordx2 v[0:1], v7, s[6:7] offset:16
	s_mov_b32 s19, exec_lo
	s_mov_b32 s18, exec_lo
	v_mbcnt_lo_u32_b32 v2, s19, 0
	v_cmpx_eq_u32_e32 0, v2
	s_cbranch_execz .LBB7_92
; %bb.91:                               ;   in Loop: Header=BB7_29 Depth=1
	s_bcnt1_i32_b32 s19, s19
	v_mov_b32_e32 v6, s19
	s_waitcnt vmcnt(0)
	global_atomic_add_x2 v[0:1], v[6:7], off offset:8
.LBB7_92:                               ;   in Loop: Header=BB7_29 Depth=1
	s_or_b32 exec_lo, exec_lo, s18
	s_waitcnt vmcnt(0)
	global_load_dwordx2 v[2:3], v[0:1], off offset:16
	s_waitcnt vmcnt(0)
	v_cmp_eq_u64_e32 vcc_lo, 0, v[2:3]
	s_cbranch_vccnz .LBB7_94
; %bb.93:                               ;   in Loop: Header=BB7_29 Depth=1
	global_load_dword v6, v[0:1], off offset:24
	s_waitcnt vmcnt(0)
	v_readfirstlane_b32 s18, v6
	s_waitcnt_vscnt null, 0x0
	global_store_dwordx2 v[2:3], v[6:7], off
	s_and_b32 m0, s18, 0x7fffff
	s_sendmsg sendmsg(MSG_INTERRUPT)
.LBB7_94:                               ;   in Loop: Header=BB7_29 Depth=1
	s_or_b32 exec_lo, exec_lo, s5
	v_add_co_u32 v0, vcc_lo, v24, v28
	v_add_co_ci_u32_e64 v1, null, 0, v25, vcc_lo
	s_branch .LBB7_98
	.p2align	6
.LBB7_95:                               ;   in Loop: Header=BB7_98 Depth=2
	s_or_b32 exec_lo, exec_lo, s5
	v_readfirstlane_b32 s5, v2
	s_cmp_eq_u32 s5, 0
	s_cbranch_scc1 .LBB7_97
; %bb.96:                               ;   in Loop: Header=BB7_98 Depth=2
	s_sleep 1
	s_cbranch_execnz .LBB7_98
	s_branch .LBB7_100
	.p2align	6
.LBB7_97:                               ;   in Loop: Header=BB7_29 Depth=1
	s_branch .LBB7_100
.LBB7_98:                               ;   Parent Loop BB7_29 Depth=1
                                        ; =>  This Inner Loop Header: Depth=2
	v_mov_b32_e32 v2, 1
	s_and_saveexec_b32 s5, s4
	s_cbranch_execz .LBB7_95
; %bb.99:                               ;   in Loop: Header=BB7_98 Depth=2
	global_load_dword v2, v[26:27], off offset:20 glc dlc
	s_waitcnt vmcnt(0)
	buffer_gl1_inv
	buffer_gl0_inv
	v_and_b32_e32 v2, 1, v2
	s_branch .LBB7_95
.LBB7_100:                              ;   in Loop: Header=BB7_29 Depth=1
	global_load_dwordx2 v[0:1], v[0:1], off
	s_and_saveexec_b32 s18, s4
	s_cbranch_execz .LBB7_28
; %bb.101:                              ;   in Loop: Header=BB7_29 Depth=1
	s_clause 0x2
	global_load_dwordx2 v[2:3], v7, s[6:7] offset:40
	global_load_dwordx2 v[14:15], v7, s[6:7] offset:24 glc dlc
	global_load_dwordx2 v[10:11], v7, s[6:7]
	s_waitcnt vmcnt(2)
	v_readfirstlane_b32 s20, v2
	v_readfirstlane_b32 s21, v3
	s_add_u32 s19, s20, 1
	s_addc_u32 s22, s21, 0
	s_add_u32 s4, s19, s16
	s_addc_u32 s5, s22, s17
	s_cmp_eq_u64 s[4:5], 0
	s_cselect_b32 s5, s22, s5
	s_cselect_b32 s4, s19, s4
	v_mov_b32_e32 v13, s5
	s_and_b64 s[16:17], s[4:5], s[20:21]
	v_mov_b32_e32 v12, s4
	s_mul_i32 s17, s17, 24
	s_mul_hi_u32 s19, s16, 24
	s_mul_i32 s16, s16, 24
	s_add_i32 s19, s19, s17
	s_waitcnt vmcnt(0)
	v_add_co_u32 v2, vcc_lo, v10, s16
	v_add_co_ci_u32_e64 v3, null, s19, v11, vcc_lo
	global_store_dwordx2 v[2:3], v[14:15], off
	s_waitcnt_vscnt null, 0x0
	global_atomic_cmpswap_x2 v[12:13], v7, v[12:15], s[6:7] offset:24 glc
	s_waitcnt vmcnt(0)
	v_cmp_ne_u64_e32 vcc_lo, v[12:13], v[14:15]
	s_and_b32 exec_lo, exec_lo, vcc_lo
	s_cbranch_execz .LBB7_28
; %bb.102:                              ;   in Loop: Header=BB7_29 Depth=1
	s_mov_b32 s16, 0
.LBB7_103:                              ;   Parent Loop BB7_29 Depth=1
                                        ; =>  This Inner Loop Header: Depth=2
	v_mov_b32_e32 v10, s4
	v_mov_b32_e32 v11, s5
	s_sleep 1
	global_store_dwordx2 v[2:3], v[12:13], off
	s_waitcnt_vscnt null, 0x0
	global_atomic_cmpswap_x2 v[10:11], v7, v[10:13], s[6:7] offset:24 glc
	s_waitcnt vmcnt(0)
	v_cmp_eq_u64_e32 vcc_lo, v[10:11], v[12:13]
	v_mov_b32_e32 v13, v11
	v_mov_b32_e32 v12, v10
	s_or_b32 s16, vcc_lo, s16
	s_andn2_b32 exec_lo, exec_lo, s16
	s_cbranch_execnz .LBB7_103
	s_branch .LBB7_28
.LBB7_104:
                                        ; implicit-def: $vgpr0_vgpr1
	s_cbranch_execnz .LBB7_106
	s_branch .LBB7_133
.LBB7_105:
	s_branch .LBB7_133
.LBB7_106:
	v_readfirstlane_b32 s4, v29
	v_mov_b32_e32 v7, 0
	v_mov_b32_e32 v8, 0
	v_cmp_eq_u32_e64 s4, s4, v29
	s_and_saveexec_b32 s5, s4
	s_cbranch_execz .LBB7_112
; %bb.107:
	s_waitcnt vmcnt(0)
	v_mov_b32_e32 v0, 0
	s_mov_b32 s10, exec_lo
	global_load_dwordx2 v[9:10], v0, s[6:7] offset:24 glc dlc
	s_waitcnt vmcnt(0)
	buffer_gl1_inv
	buffer_gl0_inv
	s_clause 0x1
	global_load_dwordx2 v[1:2], v0, s[6:7] offset:40
	global_load_dwordx2 v[6:7], v0, s[6:7]
	s_waitcnt vmcnt(1)
	v_and_b32_e32 v2, v2, v10
	v_and_b32_e32 v1, v1, v9
	v_mul_lo_u32 v2, v2, 24
	v_mul_hi_u32 v3, v1, 24
	v_mul_lo_u32 v1, v1, 24
	v_add_nc_u32_e32 v2, v3, v2
	s_waitcnt vmcnt(0)
	v_add_co_u32 v1, vcc_lo, v6, v1
	v_add_co_ci_u32_e64 v2, null, v7, v2, vcc_lo
	global_load_dwordx2 v[7:8], v[1:2], off glc dlc
	s_waitcnt vmcnt(0)
	global_atomic_cmpswap_x2 v[7:8], v0, v[7:10], s[6:7] offset:24 glc
	s_waitcnt vmcnt(0)
	buffer_gl1_inv
	buffer_gl0_inv
	v_cmpx_ne_u64_e64 v[7:8], v[9:10]
	s_cbranch_execz .LBB7_111
; %bb.108:
	s_mov_b32 s11, 0
	.p2align	6
.LBB7_109:                              ; =>This Inner Loop Header: Depth=1
	s_sleep 1
	s_clause 0x1
	global_load_dwordx2 v[1:2], v0, s[6:7] offset:40
	global_load_dwordx2 v[11:12], v0, s[6:7]
	v_mov_b32_e32 v10, v8
	v_mov_b32_e32 v9, v7
	s_waitcnt vmcnt(1)
	v_and_b32_e32 v1, v1, v9
	v_and_b32_e32 v2, v2, v10
	s_waitcnt vmcnt(0)
	v_mad_u64_u32 v[6:7], null, v1, 24, v[11:12]
	v_mov_b32_e32 v1, v7
	v_mad_u64_u32 v[1:2], null, v2, 24, v[1:2]
	v_mov_b32_e32 v7, v1
	global_load_dwordx2 v[7:8], v[6:7], off glc dlc
	s_waitcnt vmcnt(0)
	global_atomic_cmpswap_x2 v[7:8], v0, v[7:10], s[6:7] offset:24 glc
	s_waitcnt vmcnt(0)
	buffer_gl1_inv
	buffer_gl0_inv
	v_cmp_eq_u64_e32 vcc_lo, v[7:8], v[9:10]
	s_or_b32 s11, vcc_lo, s11
	s_andn2_b32 exec_lo, exec_lo, s11
	s_cbranch_execnz .LBB7_109
; %bb.110:
	s_or_b32 exec_lo, exec_lo, s11
.LBB7_111:
	s_or_b32 exec_lo, exec_lo, s10
.LBB7_112:
	s_or_b32 exec_lo, exec_lo, s5
	v_mov_b32_e32 v6, 0
	v_readfirstlane_b32 s11, v8
	v_readfirstlane_b32 s10, v7
	s_mov_b32 s5, exec_lo
	s_clause 0x1
	global_load_dwordx2 v[9:10], v6, s[6:7] offset:40
	global_load_dwordx4 v[0:3], v6, s[6:7]
	s_waitcnt vmcnt(1)
	v_readfirstlane_b32 s12, v9
	v_readfirstlane_b32 s13, v10
	s_and_b64 s[12:13], s[12:13], s[10:11]
	s_mul_i32 s14, s13, 24
	s_mul_hi_u32 s15, s12, 24
	s_mul_i32 s16, s12, 24
	s_add_i32 s15, s15, s14
	s_waitcnt vmcnt(0)
	v_add_co_u32 v8, vcc_lo, v0, s16
	v_add_co_ci_u32_e64 v9, null, s15, v1, vcc_lo
	s_and_saveexec_b32 s14, s4
	s_cbranch_execz .LBB7_114
; %bb.113:
	v_mov_b32_e32 v10, s5
	v_mov_b32_e32 v11, v6
	v_mov_b32_e32 v12, 2
	v_mov_b32_e32 v13, 1
	global_store_dwordx4 v[8:9], v[10:13], off offset:8
.LBB7_114:
	s_or_b32 exec_lo, exec_lo, s14
	s_lshl_b64 s[12:13], s[12:13], 12
	v_and_or_b32 v4, 0xffffff1f, v4, 32
	v_add_co_u32 v2, vcc_lo, v2, s12
	v_add_co_ci_u32_e64 v3, null, s13, v3, vcc_lo
	s_mov_b32 s12, 0
	v_add_co_u32 v10, vcc_lo, v2, v28
	s_mov_b32 s13, s12
	s_mov_b32 s14, s12
	;; [unrolled: 1-line block ×3, first 2 shown]
	v_mov_b32_e32 v7, v6
	v_readfirstlane_b32 s16, v2
	v_readfirstlane_b32 s17, v3
	v_mov_b32_e32 v12, s12
	v_add_co_ci_u32_e64 v11, null, 0, v3, vcc_lo
	v_mov_b32_e32 v13, s13
	v_mov_b32_e32 v14, s14
	;; [unrolled: 1-line block ×3, first 2 shown]
	global_store_dwordx4 v28, v[4:7], s[16:17]
	global_store_dwordx4 v28, v[12:15], s[16:17] offset:16
	global_store_dwordx4 v28, v[12:15], s[16:17] offset:32
	;; [unrolled: 1-line block ×3, first 2 shown]
	s_and_saveexec_b32 s5, s4
	s_cbranch_execz .LBB7_122
; %bb.115:
	v_mov_b32_e32 v6, 0
	v_mov_b32_e32 v12, s10
	;; [unrolled: 1-line block ×3, first 2 shown]
	s_clause 0x1
	global_load_dwordx2 v[14:15], v6, s[6:7] offset:32 glc dlc
	global_load_dwordx2 v[2:3], v6, s[6:7] offset:40
	s_waitcnt vmcnt(0)
	v_readfirstlane_b32 s12, v2
	v_readfirstlane_b32 s13, v3
	s_and_b64 s[12:13], s[12:13], s[10:11]
	s_mul_i32 s13, s13, 24
	s_mul_hi_u32 s14, s12, 24
	s_mul_i32 s12, s12, 24
	s_add_i32 s14, s14, s13
	v_add_co_u32 v4, vcc_lo, v0, s12
	v_add_co_ci_u32_e64 v5, null, s14, v1, vcc_lo
	s_mov_b32 s12, exec_lo
	global_store_dwordx2 v[4:5], v[14:15], off
	s_waitcnt_vscnt null, 0x0
	global_atomic_cmpswap_x2 v[2:3], v6, v[12:15], s[6:7] offset:32 glc
	s_waitcnt vmcnt(0)
	v_cmpx_ne_u64_e64 v[2:3], v[14:15]
	s_cbranch_execz .LBB7_118
; %bb.116:
	s_mov_b32 s13, 0
.LBB7_117:                              ; =>This Inner Loop Header: Depth=1
	v_mov_b32_e32 v0, s10
	v_mov_b32_e32 v1, s11
	s_sleep 1
	global_store_dwordx2 v[4:5], v[2:3], off
	s_waitcnt_vscnt null, 0x0
	global_atomic_cmpswap_x2 v[0:1], v6, v[0:3], s[6:7] offset:32 glc
	s_waitcnt vmcnt(0)
	v_cmp_eq_u64_e32 vcc_lo, v[0:1], v[2:3]
	v_mov_b32_e32 v3, v1
	v_mov_b32_e32 v2, v0
	s_or_b32 s13, vcc_lo, s13
	s_andn2_b32 exec_lo, exec_lo, s13
	s_cbranch_execnz .LBB7_117
.LBB7_118:
	s_or_b32 exec_lo, exec_lo, s12
	v_mov_b32_e32 v3, 0
	s_mov_b32 s13, exec_lo
	s_mov_b32 s12, exec_lo
	v_mbcnt_lo_u32_b32 v2, s13, 0
	global_load_dwordx2 v[0:1], v3, s[6:7] offset:16
	v_cmpx_eq_u32_e32 0, v2
	s_cbranch_execz .LBB7_120
; %bb.119:
	s_bcnt1_i32_b32 s13, s13
	v_mov_b32_e32 v2, s13
	s_waitcnt vmcnt(0)
	global_atomic_add_x2 v[0:1], v[2:3], off offset:8
.LBB7_120:
	s_or_b32 exec_lo, exec_lo, s12
	s_waitcnt vmcnt(0)
	global_load_dwordx2 v[2:3], v[0:1], off offset:16
	s_waitcnt vmcnt(0)
	v_cmp_eq_u64_e32 vcc_lo, 0, v[2:3]
	s_cbranch_vccnz .LBB7_122
; %bb.121:
	global_load_dword v0, v[0:1], off offset:24
	v_mov_b32_e32 v1, 0
	s_waitcnt vmcnt(0)
	v_readfirstlane_b32 s12, v0
	s_waitcnt_vscnt null, 0x0
	global_store_dwordx2 v[2:3], v[0:1], off
	s_and_b32 m0, s12, 0x7fffff
	s_sendmsg sendmsg(MSG_INTERRUPT)
.LBB7_122:
	s_or_b32 exec_lo, exec_lo, s5
	s_branch .LBB7_126
	.p2align	6
.LBB7_123:                              ;   in Loop: Header=BB7_126 Depth=1
	s_or_b32 exec_lo, exec_lo, s5
	v_readfirstlane_b32 s5, v0
	s_cmp_eq_u32 s5, 0
	s_cbranch_scc1 .LBB7_125
; %bb.124:                              ;   in Loop: Header=BB7_126 Depth=1
	s_sleep 1
	s_cbranch_execnz .LBB7_126
	s_branch .LBB7_128
	.p2align	6
.LBB7_125:
	s_branch .LBB7_128
.LBB7_126:                              ; =>This Inner Loop Header: Depth=1
	v_mov_b32_e32 v0, 1
	s_and_saveexec_b32 s5, s4
	s_cbranch_execz .LBB7_123
; %bb.127:                              ;   in Loop: Header=BB7_126 Depth=1
	global_load_dword v0, v[8:9], off offset:20 glc dlc
	s_waitcnt vmcnt(0)
	buffer_gl1_inv
	buffer_gl0_inv
	v_and_b32_e32 v0, 1, v0
	s_branch .LBB7_123
.LBB7_128:
	global_load_dwordx2 v[0:1], v[10:11], off
	s_and_saveexec_b32 s12, s4
	s_cbranch_execz .LBB7_132
; %bb.129:
	v_mov_b32_e32 v8, 0
	s_clause 0x2
	global_load_dwordx2 v[2:3], v8, s[6:7] offset:40
	global_load_dwordx2 v[11:12], v8, s[6:7] offset:24 glc dlc
	global_load_dwordx2 v[4:5], v8, s[6:7]
	s_waitcnt vmcnt(2)
	v_readfirstlane_b32 s14, v2
	v_readfirstlane_b32 s15, v3
	s_add_u32 s13, s14, 1
	s_addc_u32 s16, s15, 0
	s_add_u32 s4, s13, s10
	s_addc_u32 s5, s16, s11
	s_cmp_eq_u64 s[4:5], 0
	s_cselect_b32 s5, s16, s5
	s_cselect_b32 s4, s13, s4
	v_mov_b32_e32 v10, s5
	s_and_b64 s[10:11], s[4:5], s[14:15]
	v_mov_b32_e32 v9, s4
	s_mul_i32 s11, s11, 24
	s_mul_hi_u32 s13, s10, 24
	s_mul_i32 s10, s10, 24
	s_add_i32 s13, s13, s11
	s_waitcnt vmcnt(0)
	v_add_co_u32 v6, vcc_lo, v4, s10
	v_add_co_ci_u32_e64 v7, null, s13, v5, vcc_lo
	global_store_dwordx2 v[6:7], v[11:12], off
	s_waitcnt_vscnt null, 0x0
	global_atomic_cmpswap_x2 v[4:5], v8, v[9:12], s[6:7] offset:24 glc
	s_waitcnt vmcnt(0)
	v_cmp_ne_u64_e32 vcc_lo, v[4:5], v[11:12]
	s_and_b32 exec_lo, exec_lo, vcc_lo
	s_cbranch_execz .LBB7_132
; %bb.130:
	s_mov_b32 s10, 0
.LBB7_131:                              ; =>This Inner Loop Header: Depth=1
	v_mov_b32_e32 v2, s4
	v_mov_b32_e32 v3, s5
	s_sleep 1
	global_store_dwordx2 v[6:7], v[4:5], off
	s_waitcnt_vscnt null, 0x0
	global_atomic_cmpswap_x2 v[2:3], v8, v[2:5], s[6:7] offset:24 glc
	s_waitcnt vmcnt(0)
	v_cmp_eq_u64_e32 vcc_lo, v[2:3], v[4:5]
	v_mov_b32_e32 v5, v3
	v_mov_b32_e32 v4, v2
	s_or_b32 s10, vcc_lo, s10
	s_andn2_b32 exec_lo, exec_lo, s10
	s_cbranch_execnz .LBB7_131
.LBB7_132:
	s_or_b32 exec_lo, exec_lo, s12
.LBB7_133:
	s_getpc_b64 s[4:5]
	s_add_u32 s4, s4, .str.3@rel32@lo+4
	s_addc_u32 s5, s5, .str.3@rel32@hi+12
	s_mov_b64 s[10:11], 0
	s_cmp_lg_u64 s[4:5], 0
	s_cselect_b32 s12, -1, 0
	s_cmp_eq_u64 s[4:5], 0
	s_cbranch_scc1 .LBB7_137
; %bb.134:
	v_mov_b32_e32 v2, 0
	s_getpc_b64 s[4:5]
	s_add_u32 s4, s4, .str.3@rel32@lo+3
	s_addc_u32 s5, s5, .str.3@rel32@hi+11
.LBB7_135:                              ; =>This Inner Loop Header: Depth=1
	global_load_ubyte v3, v2, s[4:5] offset:1
	s_add_u32 s10, s4, 1
	s_addc_u32 s11, s5, 0
	s_mov_b64 s[4:5], s[10:11]
	s_waitcnt vmcnt(0)
	v_cmp_ne_u32_e32 vcc_lo, 0, v3
	s_cbranch_vccnz .LBB7_135
; %bb.136:
	s_getpc_b64 s[4:5]
	s_add_u32 s4, s4, .str.3@rel32@lo+4
	s_addc_u32 s5, s5, .str.3@rel32@hi+12
	s_sub_u32 s4, s10, s4
	s_subb_u32 s5, s11, s5
	s_add_u32 s10, s4, 1
	s_addc_u32 s11, s5, 0
.LBB7_137:
	s_and_b32 vcc_lo, exec_lo, s12
	s_cbranch_vccz .LBB7_215
; %bb.138:
	s_waitcnt vmcnt(0)
	v_and_b32_e32 v30, 2, v0
	v_mov_b32_e32 v7, 0
	v_and_b32_e32 v2, -3, v0
	v_mov_b32_e32 v3, v1
	v_mov_b32_e32 v8, 2
	;; [unrolled: 1-line block ×3, first 2 shown]
	s_getpc_b64 s[12:13]
	s_add_u32 s12, s12, .str.3@rel32@lo+4
	s_addc_u32 s13, s13, .str.3@rel32@hi+12
	s_branch .LBB7_140
.LBB7_139:                              ;   in Loop: Header=BB7_140 Depth=1
	s_or_b32 exec_lo, exec_lo, s18
	s_sub_u32 s10, s10, s14
	s_subb_u32 s11, s11, s15
	s_add_u32 s12, s12, s14
	s_addc_u32 s13, s13, s15
	s_cmp_lg_u64 s[10:11], 0
	s_cbranch_scc0 .LBB7_216
.LBB7_140:                              ; =>This Loop Header: Depth=1
                                        ;     Child Loop BB7_143 Depth 2
                                        ;     Child Loop BB7_150 Depth 2
                                        ;     Child Loop BB7_157 Depth 2
                                        ;     Child Loop BB7_164 Depth 2
                                        ;     Child Loop BB7_171 Depth 2
                                        ;     Child Loop BB7_178 Depth 2
                                        ;     Child Loop BB7_185 Depth 2
                                        ;     Child Loop BB7_192 Depth 2
                                        ;     Child Loop BB7_200 Depth 2
                                        ;     Child Loop BB7_209 Depth 2
                                        ;     Child Loop BB7_214 Depth 2
	v_cmp_lt_u64_e64 s4, s[10:11], 56
	v_cmp_gt_u64_e64 s16, s[10:11], 7
	s_and_b32 s4, s4, exec_lo
	s_cselect_b32 s15, s11, 0
	s_cselect_b32 s14, s10, 56
	s_add_u32 s4, s12, 8
	s_addc_u32 s5, s13, 0
	s_and_b32 vcc_lo, exec_lo, s16
	s_cbranch_vccnz .LBB7_145
; %bb.141:                              ;   in Loop: Header=BB7_140 Depth=1
	v_mov_b32_e32 v4, 0
	v_mov_b32_e32 v5, 0
	s_cmp_eq_u64 s[10:11], 0
	s_cbranch_scc1 .LBB7_144
; %bb.142:                              ;   in Loop: Header=BB7_140 Depth=1
	s_lshl_b64 s[4:5], s[14:15], 3
	s_mov_b64 s[16:17], 0
	s_mov_b64 s[18:19], s[12:13]
.LBB7_143:                              ;   Parent Loop BB7_140 Depth=1
                                        ; =>  This Inner Loop Header: Depth=2
	global_load_ubyte v6, v7, s[18:19]
	s_waitcnt vmcnt(0)
	v_and_b32_e32 v6, 0xffff, v6
	v_lshlrev_b64 v[10:11], s16, v[6:7]
	s_add_u32 s16, s16, 8
	s_addc_u32 s17, s17, 0
	s_add_u32 s18, s18, 1
	s_addc_u32 s19, s19, 0
	s_cmp_lg_u32 s4, s16
	v_or_b32_e32 v4, v10, v4
	v_or_b32_e32 v5, v11, v5
	s_cbranch_scc1 .LBB7_143
.LBB7_144:                              ;   in Loop: Header=BB7_140 Depth=1
	s_mov_b64 s[4:5], s[12:13]
	s_mov_b32 s20, 0
	s_cbranch_execz .LBB7_146
	s_branch .LBB7_147
.LBB7_145:                              ;   in Loop: Header=BB7_140 Depth=1
	s_mov_b32 s20, 0
.LBB7_146:                              ;   in Loop: Header=BB7_140 Depth=1
	global_load_dwordx2 v[4:5], v7, s[12:13]
	s_add_i32 s20, s14, -8
.LBB7_147:                              ;   in Loop: Header=BB7_140 Depth=1
	s_add_u32 s16, s4, 8
	s_addc_u32 s17, s5, 0
	s_cmp_gt_u32 s20, 7
	s_cbranch_scc1 .LBB7_152
; %bb.148:                              ;   in Loop: Header=BB7_140 Depth=1
	v_mov_b32_e32 v10, 0
	v_mov_b32_e32 v11, 0
	s_cmp_eq_u32 s20, 0
	s_cbranch_scc1 .LBB7_151
; %bb.149:                              ;   in Loop: Header=BB7_140 Depth=1
	s_mov_b64 s[16:17], 0
	s_mov_b64 s[18:19], 0
.LBB7_150:                              ;   Parent Loop BB7_140 Depth=1
                                        ; =>  This Inner Loop Header: Depth=2
	s_add_u32 s22, s4, s18
	s_addc_u32 s23, s5, s19
	s_add_u32 s18, s18, 1
	global_load_ubyte v6, v7, s[22:23]
	s_addc_u32 s19, s19, 0
	s_waitcnt vmcnt(0)
	v_and_b32_e32 v6, 0xffff, v6
	v_lshlrev_b64 v[12:13], s16, v[6:7]
	s_add_u32 s16, s16, 8
	s_addc_u32 s17, s17, 0
	s_cmp_lg_u32 s20, s18
	v_or_b32_e32 v10, v12, v10
	v_or_b32_e32 v11, v13, v11
	s_cbranch_scc1 .LBB7_150
.LBB7_151:                              ;   in Loop: Header=BB7_140 Depth=1
	s_mov_b64 s[16:17], s[4:5]
	s_mov_b32 s21, 0
	s_cbranch_execz .LBB7_153
	s_branch .LBB7_154
.LBB7_152:                              ;   in Loop: Header=BB7_140 Depth=1
                                        ; implicit-def: $vgpr10_vgpr11
	s_mov_b32 s21, 0
.LBB7_153:                              ;   in Loop: Header=BB7_140 Depth=1
	global_load_dwordx2 v[10:11], v7, s[4:5]
	s_add_i32 s21, s20, -8
.LBB7_154:                              ;   in Loop: Header=BB7_140 Depth=1
	s_add_u32 s4, s16, 8
	s_addc_u32 s5, s17, 0
	s_cmp_gt_u32 s21, 7
	s_cbranch_scc1 .LBB7_159
; %bb.155:                              ;   in Loop: Header=BB7_140 Depth=1
	v_mov_b32_e32 v12, 0
	v_mov_b32_e32 v13, 0
	s_cmp_eq_u32 s21, 0
	s_cbranch_scc1 .LBB7_158
; %bb.156:                              ;   in Loop: Header=BB7_140 Depth=1
	s_mov_b64 s[4:5], 0
	s_mov_b64 s[18:19], 0
.LBB7_157:                              ;   Parent Loop BB7_140 Depth=1
                                        ; =>  This Inner Loop Header: Depth=2
	s_add_u32 s22, s16, s18
	s_addc_u32 s23, s17, s19
	s_add_u32 s18, s18, 1
	global_load_ubyte v6, v7, s[22:23]
	s_addc_u32 s19, s19, 0
	s_waitcnt vmcnt(0)
	v_and_b32_e32 v6, 0xffff, v6
	v_lshlrev_b64 v[14:15], s4, v[6:7]
	s_add_u32 s4, s4, 8
	s_addc_u32 s5, s5, 0
	s_cmp_lg_u32 s21, s18
	v_or_b32_e32 v12, v14, v12
	v_or_b32_e32 v13, v15, v13
	s_cbranch_scc1 .LBB7_157
.LBB7_158:                              ;   in Loop: Header=BB7_140 Depth=1
	s_mov_b64 s[4:5], s[16:17]
	s_mov_b32 s20, 0
	s_cbranch_execz .LBB7_160
	s_branch .LBB7_161
.LBB7_159:                              ;   in Loop: Header=BB7_140 Depth=1
	s_mov_b32 s20, 0
.LBB7_160:                              ;   in Loop: Header=BB7_140 Depth=1
	global_load_dwordx2 v[12:13], v7, s[16:17]
	s_add_i32 s20, s21, -8
.LBB7_161:                              ;   in Loop: Header=BB7_140 Depth=1
	s_add_u32 s16, s4, 8
	s_addc_u32 s17, s5, 0
	s_cmp_gt_u32 s20, 7
	s_cbranch_scc1 .LBB7_166
; %bb.162:                              ;   in Loop: Header=BB7_140 Depth=1
	v_mov_b32_e32 v14, 0
	v_mov_b32_e32 v15, 0
	s_cmp_eq_u32 s20, 0
	s_cbranch_scc1 .LBB7_165
; %bb.163:                              ;   in Loop: Header=BB7_140 Depth=1
	s_mov_b64 s[16:17], 0
	s_mov_b64 s[18:19], 0
.LBB7_164:                              ;   Parent Loop BB7_140 Depth=1
                                        ; =>  This Inner Loop Header: Depth=2
	s_add_u32 s22, s4, s18
	s_addc_u32 s23, s5, s19
	s_add_u32 s18, s18, 1
	global_load_ubyte v6, v7, s[22:23]
	s_addc_u32 s19, s19, 0
	s_waitcnt vmcnt(0)
	v_and_b32_e32 v6, 0xffff, v6
	v_lshlrev_b64 v[16:17], s16, v[6:7]
	s_add_u32 s16, s16, 8
	s_addc_u32 s17, s17, 0
	s_cmp_lg_u32 s20, s18
	v_or_b32_e32 v14, v16, v14
	v_or_b32_e32 v15, v17, v15
	s_cbranch_scc1 .LBB7_164
.LBB7_165:                              ;   in Loop: Header=BB7_140 Depth=1
	s_mov_b64 s[16:17], s[4:5]
	s_mov_b32 s21, 0
	s_cbranch_execz .LBB7_167
	s_branch .LBB7_168
.LBB7_166:                              ;   in Loop: Header=BB7_140 Depth=1
                                        ; implicit-def: $vgpr14_vgpr15
	s_mov_b32 s21, 0
.LBB7_167:                              ;   in Loop: Header=BB7_140 Depth=1
	global_load_dwordx2 v[14:15], v7, s[4:5]
	s_add_i32 s21, s20, -8
.LBB7_168:                              ;   in Loop: Header=BB7_140 Depth=1
	s_add_u32 s4, s16, 8
	s_addc_u32 s5, s17, 0
	s_cmp_gt_u32 s21, 7
	s_cbranch_scc1 .LBB7_173
; %bb.169:                              ;   in Loop: Header=BB7_140 Depth=1
	v_mov_b32_e32 v16, 0
	v_mov_b32_e32 v17, 0
	s_cmp_eq_u32 s21, 0
	s_cbranch_scc1 .LBB7_172
; %bb.170:                              ;   in Loop: Header=BB7_140 Depth=1
	s_mov_b64 s[4:5], 0
	s_mov_b64 s[18:19], 0
.LBB7_171:                              ;   Parent Loop BB7_140 Depth=1
                                        ; =>  This Inner Loop Header: Depth=2
	s_add_u32 s22, s16, s18
	s_addc_u32 s23, s17, s19
	s_add_u32 s18, s18, 1
	global_load_ubyte v6, v7, s[22:23]
	s_addc_u32 s19, s19, 0
	s_waitcnt vmcnt(0)
	v_and_b32_e32 v6, 0xffff, v6
	v_lshlrev_b64 v[18:19], s4, v[6:7]
	s_add_u32 s4, s4, 8
	s_addc_u32 s5, s5, 0
	s_cmp_lg_u32 s21, s18
	v_or_b32_e32 v16, v18, v16
	v_or_b32_e32 v17, v19, v17
	s_cbranch_scc1 .LBB7_171
.LBB7_172:                              ;   in Loop: Header=BB7_140 Depth=1
	s_mov_b64 s[4:5], s[16:17]
	s_mov_b32 s20, 0
	s_cbranch_execz .LBB7_174
	s_branch .LBB7_175
.LBB7_173:                              ;   in Loop: Header=BB7_140 Depth=1
	s_mov_b32 s20, 0
.LBB7_174:                              ;   in Loop: Header=BB7_140 Depth=1
	global_load_dwordx2 v[16:17], v7, s[16:17]
	s_add_i32 s20, s21, -8
.LBB7_175:                              ;   in Loop: Header=BB7_140 Depth=1
	s_add_u32 s16, s4, 8
	s_addc_u32 s17, s5, 0
	s_cmp_gt_u32 s20, 7
	s_cbranch_scc1 .LBB7_180
; %bb.176:                              ;   in Loop: Header=BB7_140 Depth=1
	v_mov_b32_e32 v18, 0
	v_mov_b32_e32 v19, 0
	s_cmp_eq_u32 s20, 0
	s_cbranch_scc1 .LBB7_179
; %bb.177:                              ;   in Loop: Header=BB7_140 Depth=1
	s_mov_b64 s[16:17], 0
	s_mov_b64 s[18:19], 0
.LBB7_178:                              ;   Parent Loop BB7_140 Depth=1
                                        ; =>  This Inner Loop Header: Depth=2
	s_add_u32 s22, s4, s18
	s_addc_u32 s23, s5, s19
	s_add_u32 s18, s18, 1
	global_load_ubyte v6, v7, s[22:23]
	s_addc_u32 s19, s19, 0
	s_waitcnt vmcnt(0)
	v_and_b32_e32 v6, 0xffff, v6
	v_lshlrev_b64 v[20:21], s16, v[6:7]
	s_add_u32 s16, s16, 8
	s_addc_u32 s17, s17, 0
	s_cmp_lg_u32 s20, s18
	v_or_b32_e32 v18, v20, v18
	v_or_b32_e32 v19, v21, v19
	s_cbranch_scc1 .LBB7_178
.LBB7_179:                              ;   in Loop: Header=BB7_140 Depth=1
	s_mov_b64 s[16:17], s[4:5]
	s_mov_b32 s21, 0
	s_cbranch_execz .LBB7_181
	s_branch .LBB7_182
.LBB7_180:                              ;   in Loop: Header=BB7_140 Depth=1
                                        ; implicit-def: $vgpr18_vgpr19
	s_mov_b32 s21, 0
.LBB7_181:                              ;   in Loop: Header=BB7_140 Depth=1
	global_load_dwordx2 v[18:19], v7, s[4:5]
	s_add_i32 s21, s20, -8
.LBB7_182:                              ;   in Loop: Header=BB7_140 Depth=1
	s_cmp_gt_u32 s21, 7
	s_cbranch_scc1 .LBB7_187
; %bb.183:                              ;   in Loop: Header=BB7_140 Depth=1
	v_mov_b32_e32 v20, 0
	v_mov_b32_e32 v21, 0
	s_cmp_eq_u32 s21, 0
	s_cbranch_scc1 .LBB7_186
; %bb.184:                              ;   in Loop: Header=BB7_140 Depth=1
	s_mov_b64 s[4:5], 0
	s_mov_b64 s[18:19], s[16:17]
.LBB7_185:                              ;   Parent Loop BB7_140 Depth=1
                                        ; =>  This Inner Loop Header: Depth=2
	global_load_ubyte v6, v7, s[18:19]
	s_add_i32 s21, s21, -1
	s_waitcnt vmcnt(0)
	v_and_b32_e32 v6, 0xffff, v6
	v_lshlrev_b64 v[22:23], s4, v[6:7]
	s_add_u32 s4, s4, 8
	s_addc_u32 s5, s5, 0
	s_add_u32 s18, s18, 1
	s_addc_u32 s19, s19, 0
	s_cmp_lg_u32 s21, 0
	v_or_b32_e32 v20, v22, v20
	v_or_b32_e32 v21, v23, v21
	s_cbranch_scc1 .LBB7_185
.LBB7_186:                              ;   in Loop: Header=BB7_140 Depth=1
	s_cbranch_execz .LBB7_188
	s_branch .LBB7_189
.LBB7_187:                              ;   in Loop: Header=BB7_140 Depth=1
.LBB7_188:                              ;   in Loop: Header=BB7_140 Depth=1
	global_load_dwordx2 v[20:21], v7, s[16:17]
.LBB7_189:                              ;   in Loop: Header=BB7_140 Depth=1
	v_readfirstlane_b32 s4, v29
	v_mov_b32_e32 v26, 0
	v_mov_b32_e32 v27, 0
	v_cmp_eq_u32_e64 s4, s4, v29
	s_and_saveexec_b32 s5, s4
	s_cbranch_execz .LBB7_195
; %bb.190:                              ;   in Loop: Header=BB7_140 Depth=1
	global_load_dwordx2 v[24:25], v7, s[6:7] offset:24 glc dlc
	s_waitcnt vmcnt(0)
	buffer_gl1_inv
	buffer_gl0_inv
	s_clause 0x1
	global_load_dwordx2 v[22:23], v7, s[6:7] offset:40
	global_load_dwordx2 v[26:27], v7, s[6:7]
	s_mov_b32 s16, exec_lo
	s_waitcnt vmcnt(1)
	v_and_b32_e32 v6, v23, v25
	v_and_b32_e32 v22, v22, v24
	v_mul_lo_u32 v6, v6, 24
	v_mul_hi_u32 v23, v22, 24
	v_mul_lo_u32 v22, v22, 24
	v_add_nc_u32_e32 v6, v23, v6
	s_waitcnt vmcnt(0)
	v_add_co_u32 v22, vcc_lo, v26, v22
	v_add_co_ci_u32_e64 v23, null, v27, v6, vcc_lo
	global_load_dwordx2 v[22:23], v[22:23], off glc dlc
	s_waitcnt vmcnt(0)
	global_atomic_cmpswap_x2 v[26:27], v7, v[22:25], s[6:7] offset:24 glc
	s_waitcnt vmcnt(0)
	buffer_gl1_inv
	buffer_gl0_inv
	v_cmpx_ne_u64_e64 v[26:27], v[24:25]
	s_cbranch_execz .LBB7_194
; %bb.191:                              ;   in Loop: Header=BB7_140 Depth=1
	s_mov_b32 s17, 0
	.p2align	6
.LBB7_192:                              ;   Parent Loop BB7_140 Depth=1
                                        ; =>  This Inner Loop Header: Depth=2
	s_sleep 1
	s_clause 0x1
	global_load_dwordx2 v[22:23], v7, s[6:7] offset:40
	global_load_dwordx2 v[31:32], v7, s[6:7]
	v_mov_b32_e32 v24, v26
	v_mov_b32_e32 v25, v27
	s_waitcnt vmcnt(1)
	v_and_b32_e32 v6, v22, v24
	v_and_b32_e32 v22, v23, v25
	s_waitcnt vmcnt(0)
	v_mad_u64_u32 v[26:27], null, v6, 24, v[31:32]
	v_mov_b32_e32 v6, v27
	v_mad_u64_u32 v[22:23], null, v22, 24, v[6:7]
	v_mov_b32_e32 v27, v22
	global_load_dwordx2 v[22:23], v[26:27], off glc dlc
	s_waitcnt vmcnt(0)
	global_atomic_cmpswap_x2 v[26:27], v7, v[22:25], s[6:7] offset:24 glc
	s_waitcnt vmcnt(0)
	buffer_gl1_inv
	buffer_gl0_inv
	v_cmp_eq_u64_e32 vcc_lo, v[26:27], v[24:25]
	s_or_b32 s17, vcc_lo, s17
	s_andn2_b32 exec_lo, exec_lo, s17
	s_cbranch_execnz .LBB7_192
; %bb.193:                              ;   in Loop: Header=BB7_140 Depth=1
	s_or_b32 exec_lo, exec_lo, s17
.LBB7_194:                              ;   in Loop: Header=BB7_140 Depth=1
	s_or_b32 exec_lo, exec_lo, s16
.LBB7_195:                              ;   in Loop: Header=BB7_140 Depth=1
	s_or_b32 exec_lo, exec_lo, s5
	s_clause 0x1
	global_load_dwordx2 v[31:32], v7, s[6:7] offset:40
	global_load_dwordx4 v[22:25], v7, s[6:7]
	v_readfirstlane_b32 s17, v27
	v_readfirstlane_b32 s16, v26
	s_mov_b32 s5, exec_lo
	s_waitcnt vmcnt(1)
	v_readfirstlane_b32 s18, v31
	v_readfirstlane_b32 s19, v32
	s_and_b64 s[18:19], s[18:19], s[16:17]
	s_mul_i32 s20, s19, 24
	s_mul_hi_u32 s21, s18, 24
	s_mul_i32 s22, s18, 24
	s_add_i32 s21, s21, s20
	s_waitcnt vmcnt(0)
	v_add_co_u32 v26, vcc_lo, v22, s22
	v_add_co_ci_u32_e64 v27, null, s21, v23, vcc_lo
	s_and_saveexec_b32 s20, s4
	s_cbranch_execz .LBB7_197
; %bb.196:                              ;   in Loop: Header=BB7_140 Depth=1
	v_mov_b32_e32 v6, s5
	global_store_dwordx4 v[26:27], v[6:9], off offset:8
.LBB7_197:                              ;   in Loop: Header=BB7_140 Depth=1
	s_or_b32 exec_lo, exec_lo, s20
	v_cmp_lt_u64_e64 vcc_lo, s[10:11], 57
	s_lshl_b64 s[18:19], s[18:19], 12
	v_and_b32_e32 v2, 0xffffff1f, v2
	s_lshl_b32 s5, s14, 2
	s_add_i32 s5, s5, 28
	v_cndmask_b32_e32 v6, 0, v30, vcc_lo
	v_add_co_u32 v24, vcc_lo, v24, s18
	v_add_co_ci_u32_e64 v25, null, s19, v25, vcc_lo
	v_or_b32_e32 v2, v2, v6
	v_readfirstlane_b32 s18, v24
	v_readfirstlane_b32 s19, v25
	v_and_or_b32 v2, 0x1e0, s5, v2
	global_store_dwordx4 v28, v[10:13], s[18:19] offset:16
	global_store_dwordx4 v28, v[2:5], s[18:19]
	global_store_dwordx4 v28, v[14:17], s[18:19] offset:32
	global_store_dwordx4 v28, v[18:21], s[18:19] offset:48
	s_and_saveexec_b32 s5, s4
	s_cbranch_execz .LBB7_205
; %bb.198:                              ;   in Loop: Header=BB7_140 Depth=1
	s_clause 0x1
	global_load_dwordx2 v[14:15], v7, s[6:7] offset:32 glc dlc
	global_load_dwordx2 v[2:3], v7, s[6:7] offset:40
	v_mov_b32_e32 v12, s16
	v_mov_b32_e32 v13, s17
	s_waitcnt vmcnt(0)
	v_readfirstlane_b32 s18, v2
	v_readfirstlane_b32 s19, v3
	s_and_b64 s[18:19], s[18:19], s[16:17]
	s_mul_i32 s19, s19, 24
	s_mul_hi_u32 s20, s18, 24
	s_mul_i32 s18, s18, 24
	s_add_i32 s20, s20, s19
	v_add_co_u32 v10, vcc_lo, v22, s18
	v_add_co_ci_u32_e64 v11, null, s20, v23, vcc_lo
	s_mov_b32 s18, exec_lo
	global_store_dwordx2 v[10:11], v[14:15], off
	s_waitcnt_vscnt null, 0x0
	global_atomic_cmpswap_x2 v[4:5], v7, v[12:15], s[6:7] offset:32 glc
	s_waitcnt vmcnt(0)
	v_cmpx_ne_u64_e64 v[4:5], v[14:15]
	s_cbranch_execz .LBB7_201
; %bb.199:                              ;   in Loop: Header=BB7_140 Depth=1
	s_mov_b32 s19, 0
.LBB7_200:                              ;   Parent Loop BB7_140 Depth=1
                                        ; =>  This Inner Loop Header: Depth=2
	v_mov_b32_e32 v2, s16
	v_mov_b32_e32 v3, s17
	s_sleep 1
	global_store_dwordx2 v[10:11], v[4:5], off
	s_waitcnt_vscnt null, 0x0
	global_atomic_cmpswap_x2 v[2:3], v7, v[2:5], s[6:7] offset:32 glc
	s_waitcnt vmcnt(0)
	v_cmp_eq_u64_e32 vcc_lo, v[2:3], v[4:5]
	v_mov_b32_e32 v5, v3
	v_mov_b32_e32 v4, v2
	s_or_b32 s19, vcc_lo, s19
	s_andn2_b32 exec_lo, exec_lo, s19
	s_cbranch_execnz .LBB7_200
.LBB7_201:                              ;   in Loop: Header=BB7_140 Depth=1
	s_or_b32 exec_lo, exec_lo, s18
	global_load_dwordx2 v[2:3], v7, s[6:7] offset:16
	s_mov_b32 s19, exec_lo
	s_mov_b32 s18, exec_lo
	v_mbcnt_lo_u32_b32 v4, s19, 0
	v_cmpx_eq_u32_e32 0, v4
	s_cbranch_execz .LBB7_203
; %bb.202:                              ;   in Loop: Header=BB7_140 Depth=1
	s_bcnt1_i32_b32 s19, s19
	v_mov_b32_e32 v6, s19
	s_waitcnt vmcnt(0)
	global_atomic_add_x2 v[2:3], v[6:7], off offset:8
.LBB7_203:                              ;   in Loop: Header=BB7_140 Depth=1
	s_or_b32 exec_lo, exec_lo, s18
	s_waitcnt vmcnt(0)
	global_load_dwordx2 v[4:5], v[2:3], off offset:16
	s_waitcnt vmcnt(0)
	v_cmp_eq_u64_e32 vcc_lo, 0, v[4:5]
	s_cbranch_vccnz .LBB7_205
; %bb.204:                              ;   in Loop: Header=BB7_140 Depth=1
	global_load_dword v6, v[2:3], off offset:24
	s_waitcnt vmcnt(0)
	v_readfirstlane_b32 s18, v6
	s_waitcnt_vscnt null, 0x0
	global_store_dwordx2 v[4:5], v[6:7], off
	s_and_b32 m0, s18, 0x7fffff
	s_sendmsg sendmsg(MSG_INTERRUPT)
.LBB7_205:                              ;   in Loop: Header=BB7_140 Depth=1
	s_or_b32 exec_lo, exec_lo, s5
	v_add_co_u32 v2, vcc_lo, v24, v28
	v_add_co_ci_u32_e64 v3, null, 0, v25, vcc_lo
	s_branch .LBB7_209
	.p2align	6
.LBB7_206:                              ;   in Loop: Header=BB7_209 Depth=2
	s_or_b32 exec_lo, exec_lo, s5
	v_readfirstlane_b32 s5, v4
	s_cmp_eq_u32 s5, 0
	s_cbranch_scc1 .LBB7_208
; %bb.207:                              ;   in Loop: Header=BB7_209 Depth=2
	s_sleep 1
	s_cbranch_execnz .LBB7_209
	s_branch .LBB7_211
	.p2align	6
.LBB7_208:                              ;   in Loop: Header=BB7_140 Depth=1
	s_branch .LBB7_211
.LBB7_209:                              ;   Parent Loop BB7_140 Depth=1
                                        ; =>  This Inner Loop Header: Depth=2
	v_mov_b32_e32 v4, 1
	s_and_saveexec_b32 s5, s4
	s_cbranch_execz .LBB7_206
; %bb.210:                              ;   in Loop: Header=BB7_209 Depth=2
	global_load_dword v4, v[26:27], off offset:20 glc dlc
	s_waitcnt vmcnt(0)
	buffer_gl1_inv
	buffer_gl0_inv
	v_and_b32_e32 v4, 1, v4
	s_branch .LBB7_206
.LBB7_211:                              ;   in Loop: Header=BB7_140 Depth=1
	global_load_dwordx2 v[2:3], v[2:3], off
	s_and_saveexec_b32 s18, s4
	s_cbranch_execz .LBB7_139
; %bb.212:                              ;   in Loop: Header=BB7_140 Depth=1
	s_clause 0x2
	global_load_dwordx2 v[4:5], v7, s[6:7] offset:40
	global_load_dwordx2 v[14:15], v7, s[6:7] offset:24 glc dlc
	global_load_dwordx2 v[10:11], v7, s[6:7]
	s_waitcnt vmcnt(2)
	v_readfirstlane_b32 s20, v4
	v_readfirstlane_b32 s21, v5
	s_add_u32 s19, s20, 1
	s_addc_u32 s22, s21, 0
	s_add_u32 s4, s19, s16
	s_addc_u32 s5, s22, s17
	s_cmp_eq_u64 s[4:5], 0
	s_cselect_b32 s5, s22, s5
	s_cselect_b32 s4, s19, s4
	v_mov_b32_e32 v13, s5
	s_and_b64 s[16:17], s[4:5], s[20:21]
	v_mov_b32_e32 v12, s4
	s_mul_i32 s17, s17, 24
	s_mul_hi_u32 s19, s16, 24
	s_mul_i32 s16, s16, 24
	s_add_i32 s19, s19, s17
	s_waitcnt vmcnt(0)
	v_add_co_u32 v4, vcc_lo, v10, s16
	v_add_co_ci_u32_e64 v5, null, s19, v11, vcc_lo
	global_store_dwordx2 v[4:5], v[14:15], off
	s_waitcnt_vscnt null, 0x0
	global_atomic_cmpswap_x2 v[12:13], v7, v[12:15], s[6:7] offset:24 glc
	s_waitcnt vmcnt(0)
	v_cmp_ne_u64_e32 vcc_lo, v[12:13], v[14:15]
	s_and_b32 exec_lo, exec_lo, vcc_lo
	s_cbranch_execz .LBB7_139
; %bb.213:                              ;   in Loop: Header=BB7_140 Depth=1
	s_mov_b32 s16, 0
.LBB7_214:                              ;   Parent Loop BB7_140 Depth=1
                                        ; =>  This Inner Loop Header: Depth=2
	v_mov_b32_e32 v10, s4
	v_mov_b32_e32 v11, s5
	s_sleep 1
	global_store_dwordx2 v[4:5], v[12:13], off
	s_waitcnt_vscnt null, 0x0
	global_atomic_cmpswap_x2 v[10:11], v7, v[10:13], s[6:7] offset:24 glc
	s_waitcnt vmcnt(0)
	v_cmp_eq_u64_e32 vcc_lo, v[10:11], v[12:13]
	v_mov_b32_e32 v13, v11
	v_mov_b32_e32 v12, v10
	s_or_b32 s16, vcc_lo, s16
	s_andn2_b32 exec_lo, exec_lo, s16
	s_cbranch_execnz .LBB7_214
	s_branch .LBB7_139
.LBB7_215:
                                        ; implicit-def: $vgpr2_vgpr3
	s_cbranch_execnz .LBB7_217
	s_branch .LBB7_244
.LBB7_216:
	s_branch .LBB7_244
.LBB7_217:
	v_readfirstlane_b32 s4, v29
	v_mov_b32_e32 v8, 0
	v_mov_b32_e32 v9, 0
	v_cmp_eq_u32_e64 s4, s4, v29
	s_and_saveexec_b32 s5, s4
	s_cbranch_execz .LBB7_223
; %bb.218:
	s_waitcnt vmcnt(0)
	v_mov_b32_e32 v2, 0
	s_mov_b32 s10, exec_lo
	global_load_dwordx2 v[5:6], v2, s[6:7] offset:24 glc dlc
	s_waitcnt vmcnt(0)
	buffer_gl1_inv
	buffer_gl0_inv
	s_clause 0x1
	global_load_dwordx2 v[3:4], v2, s[6:7] offset:40
	global_load_dwordx2 v[7:8], v2, s[6:7]
	s_waitcnt vmcnt(1)
	v_and_b32_e32 v4, v4, v6
	v_and_b32_e32 v3, v3, v5
	v_mul_lo_u32 v4, v4, 24
	v_mul_hi_u32 v9, v3, 24
	v_mul_lo_u32 v3, v3, 24
	v_add_nc_u32_e32 v4, v9, v4
	s_waitcnt vmcnt(0)
	v_add_co_u32 v3, vcc_lo, v7, v3
	v_add_co_ci_u32_e64 v4, null, v8, v4, vcc_lo
	global_load_dwordx2 v[3:4], v[3:4], off glc dlc
	s_waitcnt vmcnt(0)
	global_atomic_cmpswap_x2 v[8:9], v2, v[3:6], s[6:7] offset:24 glc
	s_waitcnt vmcnt(0)
	buffer_gl1_inv
	buffer_gl0_inv
	v_cmpx_ne_u64_e64 v[8:9], v[5:6]
	s_cbranch_execz .LBB7_222
; %bb.219:
	s_mov_b32 s11, 0
	.p2align	6
.LBB7_220:                              ; =>This Inner Loop Header: Depth=1
	s_sleep 1
	s_clause 0x1
	global_load_dwordx2 v[3:4], v2, s[6:7] offset:40
	global_load_dwordx2 v[10:11], v2, s[6:7]
	v_mov_b32_e32 v5, v8
	v_mov_b32_e32 v6, v9
	s_waitcnt vmcnt(1)
	v_and_b32_e32 v3, v3, v5
	v_and_b32_e32 v4, v4, v6
	s_waitcnt vmcnt(0)
	v_mad_u64_u32 v[7:8], null, v3, 24, v[10:11]
	v_mov_b32_e32 v3, v8
	v_mad_u64_u32 v[3:4], null, v4, 24, v[3:4]
	v_mov_b32_e32 v8, v3
	global_load_dwordx2 v[3:4], v[7:8], off glc dlc
	s_waitcnt vmcnt(0)
	global_atomic_cmpswap_x2 v[8:9], v2, v[3:6], s[6:7] offset:24 glc
	s_waitcnt vmcnt(0)
	buffer_gl1_inv
	buffer_gl0_inv
	v_cmp_eq_u64_e32 vcc_lo, v[8:9], v[5:6]
	s_or_b32 s11, vcc_lo, s11
	s_andn2_b32 exec_lo, exec_lo, s11
	s_cbranch_execnz .LBB7_220
; %bb.221:
	s_or_b32 exec_lo, exec_lo, s11
.LBB7_222:
	s_or_b32 exec_lo, exec_lo, s10
.LBB7_223:
	s_or_b32 exec_lo, exec_lo, s5
	s_waitcnt vmcnt(0)
	v_mov_b32_e32 v2, 0
	v_readfirstlane_b32 s11, v9
	v_readfirstlane_b32 s10, v8
	s_mov_b32 s5, exec_lo
	s_clause 0x1
	global_load_dwordx2 v[10:11], v2, s[6:7] offset:40
	global_load_dwordx4 v[4:7], v2, s[6:7]
	s_waitcnt vmcnt(1)
	v_readfirstlane_b32 s12, v10
	v_readfirstlane_b32 s13, v11
	s_and_b64 s[12:13], s[12:13], s[10:11]
	s_mul_i32 s14, s13, 24
	s_mul_hi_u32 s15, s12, 24
	s_mul_i32 s16, s12, 24
	s_add_i32 s15, s15, s14
	s_waitcnt vmcnt(0)
	v_add_co_u32 v8, vcc_lo, v4, s16
	v_add_co_ci_u32_e64 v9, null, s15, v5, vcc_lo
	s_and_saveexec_b32 s14, s4
	s_cbranch_execz .LBB7_225
; %bb.224:
	v_mov_b32_e32 v10, s5
	v_mov_b32_e32 v11, v2
	;; [unrolled: 1-line block ×4, first 2 shown]
	global_store_dwordx4 v[8:9], v[10:13], off offset:8
.LBB7_225:
	s_or_b32 exec_lo, exec_lo, s14
	s_lshl_b64 s[12:13], s[12:13], 12
	v_and_or_b32 v0, 0xffffff1f, v0, 32
	v_add_co_u32 v6, vcc_lo, v6, s12
	v_add_co_ci_u32_e64 v7, null, s13, v7, vcc_lo
	s_mov_b32 s12, 0
	v_readfirstlane_b32 s16, v6
	v_add_co_u32 v6, vcc_lo, v6, v28
	s_mov_b32 s13, s12
	s_mov_b32 s14, s12
	;; [unrolled: 1-line block ×3, first 2 shown]
	v_mov_b32_e32 v3, v2
	v_readfirstlane_b32 s17, v7
	v_mov_b32_e32 v10, s12
	v_add_co_ci_u32_e64 v7, null, 0, v7, vcc_lo
	v_mov_b32_e32 v11, s13
	v_mov_b32_e32 v12, s14
	;; [unrolled: 1-line block ×3, first 2 shown]
	global_store_dwordx4 v28, v[0:3], s[16:17]
	global_store_dwordx4 v28, v[10:13], s[16:17] offset:16
	global_store_dwordx4 v28, v[10:13], s[16:17] offset:32
	;; [unrolled: 1-line block ×3, first 2 shown]
	s_and_saveexec_b32 s5, s4
	s_cbranch_execz .LBB7_233
; %bb.226:
	v_mov_b32_e32 v10, 0
	v_mov_b32_e32 v11, s10
	;; [unrolled: 1-line block ×3, first 2 shown]
	s_clause 0x1
	global_load_dwordx2 v[13:14], v10, s[6:7] offset:32 glc dlc
	global_load_dwordx2 v[0:1], v10, s[6:7] offset:40
	s_waitcnt vmcnt(0)
	v_readfirstlane_b32 s12, v0
	v_readfirstlane_b32 s13, v1
	s_and_b64 s[12:13], s[12:13], s[10:11]
	s_mul_i32 s13, s13, 24
	s_mul_hi_u32 s14, s12, 24
	s_mul_i32 s12, s12, 24
	s_add_i32 s14, s14, s13
	v_add_co_u32 v4, vcc_lo, v4, s12
	v_add_co_ci_u32_e64 v5, null, s14, v5, vcc_lo
	s_mov_b32 s12, exec_lo
	global_store_dwordx2 v[4:5], v[13:14], off
	s_waitcnt_vscnt null, 0x0
	global_atomic_cmpswap_x2 v[2:3], v10, v[11:14], s[6:7] offset:32 glc
	s_waitcnt vmcnt(0)
	v_cmpx_ne_u64_e64 v[2:3], v[13:14]
	s_cbranch_execz .LBB7_229
; %bb.227:
	s_mov_b32 s13, 0
.LBB7_228:                              ; =>This Inner Loop Header: Depth=1
	v_mov_b32_e32 v0, s10
	v_mov_b32_e32 v1, s11
	s_sleep 1
	global_store_dwordx2 v[4:5], v[2:3], off
	s_waitcnt_vscnt null, 0x0
	global_atomic_cmpswap_x2 v[0:1], v10, v[0:3], s[6:7] offset:32 glc
	s_waitcnt vmcnt(0)
	v_cmp_eq_u64_e32 vcc_lo, v[0:1], v[2:3]
	v_mov_b32_e32 v3, v1
	v_mov_b32_e32 v2, v0
	s_or_b32 s13, vcc_lo, s13
	s_andn2_b32 exec_lo, exec_lo, s13
	s_cbranch_execnz .LBB7_228
.LBB7_229:
	s_or_b32 exec_lo, exec_lo, s12
	v_mov_b32_e32 v3, 0
	s_mov_b32 s13, exec_lo
	s_mov_b32 s12, exec_lo
	v_mbcnt_lo_u32_b32 v2, s13, 0
	global_load_dwordx2 v[0:1], v3, s[6:7] offset:16
	v_cmpx_eq_u32_e32 0, v2
	s_cbranch_execz .LBB7_231
; %bb.230:
	s_bcnt1_i32_b32 s13, s13
	v_mov_b32_e32 v2, s13
	s_waitcnt vmcnt(0)
	global_atomic_add_x2 v[0:1], v[2:3], off offset:8
.LBB7_231:
	s_or_b32 exec_lo, exec_lo, s12
	s_waitcnt vmcnt(0)
	global_load_dwordx2 v[2:3], v[0:1], off offset:16
	s_waitcnt vmcnt(0)
	v_cmp_eq_u64_e32 vcc_lo, 0, v[2:3]
	s_cbranch_vccnz .LBB7_233
; %bb.232:
	global_load_dword v0, v[0:1], off offset:24
	v_mov_b32_e32 v1, 0
	s_waitcnt vmcnt(0)
	v_readfirstlane_b32 s12, v0
	s_waitcnt_vscnt null, 0x0
	global_store_dwordx2 v[2:3], v[0:1], off
	s_and_b32 m0, s12, 0x7fffff
	s_sendmsg sendmsg(MSG_INTERRUPT)
.LBB7_233:
	s_or_b32 exec_lo, exec_lo, s5
	s_branch .LBB7_237
	.p2align	6
.LBB7_234:                              ;   in Loop: Header=BB7_237 Depth=1
	s_or_b32 exec_lo, exec_lo, s5
	v_readfirstlane_b32 s5, v0
	s_cmp_eq_u32 s5, 0
	s_cbranch_scc1 .LBB7_236
; %bb.235:                              ;   in Loop: Header=BB7_237 Depth=1
	s_sleep 1
	s_cbranch_execnz .LBB7_237
	s_branch .LBB7_239
	.p2align	6
.LBB7_236:
	s_branch .LBB7_239
.LBB7_237:                              ; =>This Inner Loop Header: Depth=1
	v_mov_b32_e32 v0, 1
	s_and_saveexec_b32 s5, s4
	s_cbranch_execz .LBB7_234
; %bb.238:                              ;   in Loop: Header=BB7_237 Depth=1
	global_load_dword v0, v[8:9], off offset:20 glc dlc
	s_waitcnt vmcnt(0)
	buffer_gl1_inv
	buffer_gl0_inv
	v_and_b32_e32 v0, 1, v0
	s_branch .LBB7_234
.LBB7_239:
	global_load_dwordx2 v[2:3], v[6:7], off
	s_and_saveexec_b32 s12, s4
	s_cbranch_execz .LBB7_243
; %bb.240:
	v_mov_b32_e32 v8, 0
	s_clause 0x2
	global_load_dwordx2 v[0:1], v8, s[6:7] offset:40
	global_load_dwordx2 v[11:12], v8, s[6:7] offset:24 glc dlc
	global_load_dwordx2 v[4:5], v8, s[6:7]
	s_waitcnt vmcnt(2)
	v_readfirstlane_b32 s14, v0
	v_readfirstlane_b32 s15, v1
	s_add_u32 s13, s14, 1
	s_addc_u32 s16, s15, 0
	s_add_u32 s4, s13, s10
	s_addc_u32 s5, s16, s11
	s_cmp_eq_u64 s[4:5], 0
	s_cselect_b32 s5, s16, s5
	s_cselect_b32 s4, s13, s4
	v_mov_b32_e32 v10, s5
	s_and_b64 s[10:11], s[4:5], s[14:15]
	v_mov_b32_e32 v9, s4
	s_mul_i32 s11, s11, 24
	s_mul_hi_u32 s13, s10, 24
	s_mul_i32 s10, s10, 24
	s_add_i32 s13, s13, s11
	s_waitcnt vmcnt(0)
	v_add_co_u32 v0, vcc_lo, v4, s10
	v_add_co_ci_u32_e64 v1, null, s13, v5, vcc_lo
	global_store_dwordx2 v[0:1], v[11:12], off
	s_waitcnt_vscnt null, 0x0
	global_atomic_cmpswap_x2 v[6:7], v8, v[9:12], s[6:7] offset:24 glc
	s_waitcnt vmcnt(0)
	v_cmp_ne_u64_e32 vcc_lo, v[6:7], v[11:12]
	s_and_b32 exec_lo, exec_lo, vcc_lo
	s_cbranch_execz .LBB7_243
; %bb.241:
	s_mov_b32 s10, 0
.LBB7_242:                              ; =>This Inner Loop Header: Depth=1
	v_mov_b32_e32 v4, s4
	v_mov_b32_e32 v5, s5
	s_sleep 1
	global_store_dwordx2 v[0:1], v[6:7], off
	s_waitcnt_vscnt null, 0x0
	global_atomic_cmpswap_x2 v[4:5], v8, v[4:7], s[6:7] offset:24 glc
	s_waitcnt vmcnt(0)
	v_cmp_eq_u64_e32 vcc_lo, v[4:5], v[6:7]
	v_mov_b32_e32 v7, v5
	v_mov_b32_e32 v6, v4
	s_or_b32 s10, vcc_lo, s10
	s_andn2_b32 exec_lo, exec_lo, s10
	s_cbranch_execnz .LBB7_242
.LBB7_243:
	s_or_b32 exec_lo, exec_lo, s12
.LBB7_244:
	v_readfirstlane_b32 s4, v29
	s_waitcnt vmcnt(0)
	v_mov_b32_e32 v0, 0
	v_mov_b32_e32 v1, 0
	v_cmp_eq_u32_e64 s4, s4, v29
	s_and_saveexec_b32 s5, s4
	s_cbranch_execz .LBB7_250
; %bb.245:
	v_mov_b32_e32 v4, 0
	s_mov_b32 s10, exec_lo
	global_load_dwordx2 v[7:8], v4, s[6:7] offset:24 glc dlc
	s_waitcnt vmcnt(0)
	buffer_gl1_inv
	buffer_gl0_inv
	s_clause 0x1
	global_load_dwordx2 v[0:1], v4, s[6:7] offset:40
	global_load_dwordx2 v[5:6], v4, s[6:7]
	s_waitcnt vmcnt(1)
	v_and_b32_e32 v1, v1, v8
	v_and_b32_e32 v0, v0, v7
	v_mul_lo_u32 v1, v1, 24
	v_mul_hi_u32 v9, v0, 24
	v_mul_lo_u32 v0, v0, 24
	v_add_nc_u32_e32 v1, v9, v1
	s_waitcnt vmcnt(0)
	v_add_co_u32 v0, vcc_lo, v5, v0
	v_add_co_ci_u32_e64 v1, null, v6, v1, vcc_lo
	global_load_dwordx2 v[5:6], v[0:1], off glc dlc
	s_waitcnt vmcnt(0)
	global_atomic_cmpswap_x2 v[0:1], v4, v[5:8], s[6:7] offset:24 glc
	s_waitcnt vmcnt(0)
	buffer_gl1_inv
	buffer_gl0_inv
	v_cmpx_ne_u64_e64 v[0:1], v[7:8]
	s_cbranch_execz .LBB7_249
; %bb.246:
	s_mov_b32 s11, 0
	.p2align	6
.LBB7_247:                              ; =>This Inner Loop Header: Depth=1
	s_sleep 1
	s_clause 0x1
	global_load_dwordx2 v[5:6], v4, s[6:7] offset:40
	global_load_dwordx2 v[9:10], v4, s[6:7]
	v_mov_b32_e32 v8, v1
	v_mov_b32_e32 v7, v0
	s_waitcnt vmcnt(1)
	v_and_b32_e32 v0, v5, v7
	v_and_b32_e32 v5, v6, v8
	s_waitcnt vmcnt(0)
	v_mad_u64_u32 v[0:1], null, v0, 24, v[9:10]
	v_mad_u64_u32 v[5:6], null, v5, 24, v[1:2]
	v_mov_b32_e32 v1, v5
	global_load_dwordx2 v[5:6], v[0:1], off glc dlc
	s_waitcnt vmcnt(0)
	global_atomic_cmpswap_x2 v[0:1], v4, v[5:8], s[6:7] offset:24 glc
	s_waitcnt vmcnt(0)
	buffer_gl1_inv
	buffer_gl0_inv
	v_cmp_eq_u64_e32 vcc_lo, v[0:1], v[7:8]
	s_or_b32 s11, vcc_lo, s11
	s_andn2_b32 exec_lo, exec_lo, s11
	s_cbranch_execnz .LBB7_247
; %bb.248:
	s_or_b32 exec_lo, exec_lo, s11
.LBB7_249:
	s_or_b32 exec_lo, exec_lo, s10
.LBB7_250:
	s_or_b32 exec_lo, exec_lo, s5
	v_mov_b32_e32 v5, 0
	v_readfirstlane_b32 s11, v1
	v_readfirstlane_b32 s10, v0
	s_mov_b32 s5, exec_lo
	s_clause 0x1
	global_load_dwordx2 v[10:11], v5, s[6:7] offset:40
	global_load_dwordx4 v[6:9], v5, s[6:7]
	s_waitcnt vmcnt(1)
	v_readfirstlane_b32 s12, v10
	v_readfirstlane_b32 s13, v11
	s_and_b64 s[12:13], s[12:13], s[10:11]
	s_mul_i32 s14, s13, 24
	s_mul_hi_u32 s15, s12, 24
	s_mul_i32 s16, s12, 24
	s_add_i32 s15, s15, s14
	s_waitcnt vmcnt(0)
	v_add_co_u32 v10, vcc_lo, v6, s16
	v_add_co_ci_u32_e64 v11, null, s15, v7, vcc_lo
	s_and_saveexec_b32 s14, s4
	s_cbranch_execz .LBB7_252
; %bb.251:
	v_mov_b32_e32 v4, s5
	v_mov_b32_e32 v13, v5
	;; [unrolled: 1-line block ×5, first 2 shown]
	global_store_dwordx4 v[10:11], v[12:15], off offset:8
.LBB7_252:
	s_or_b32 exec_lo, exec_lo, s14
	s_lshl_b64 s[12:13], s[12:13], 12
	v_and_or_b32 v2, 0xffffff1f, v2, 32
	v_add_co_u32 v0, vcc_lo, v8, s12
	v_add_co_ci_u32_e64 v1, null, s13, v9, vcc_lo
	s_mov_b32 s12, 0
	v_add_co_u32 v8, vcc_lo, v0, v28
	s_mov_b32 s13, s12
	s_mov_b32 s14, s12
	;; [unrolled: 1-line block ×3, first 2 shown]
	v_mov_b32_e32 v4, 0x41
	v_readfirstlane_b32 s16, v0
	v_readfirstlane_b32 s17, v1
	v_mov_b32_e32 v12, s12
	v_add_co_ci_u32_e64 v9, null, 0, v1, vcc_lo
	v_mov_b32_e32 v13, s13
	v_mov_b32_e32 v14, s14
	;; [unrolled: 1-line block ×3, first 2 shown]
	global_store_dwordx4 v28, v[2:5], s[16:17]
	global_store_dwordx4 v28, v[12:15], s[16:17] offset:16
	global_store_dwordx4 v28, v[12:15], s[16:17] offset:32
	global_store_dwordx4 v28, v[12:15], s[16:17] offset:48
	s_and_saveexec_b32 s5, s4
	s_cbranch_execz .LBB7_260
; %bb.253:
	v_mov_b32_e32 v12, 0
	v_mov_b32_e32 v13, s10
	;; [unrolled: 1-line block ×3, first 2 shown]
	s_clause 0x1
	global_load_dwordx2 v[15:16], v12, s[6:7] offset:32 glc dlc
	global_load_dwordx2 v[0:1], v12, s[6:7] offset:40
	s_waitcnt vmcnt(0)
	v_readfirstlane_b32 s12, v0
	v_readfirstlane_b32 s13, v1
	s_and_b64 s[12:13], s[12:13], s[10:11]
	s_mul_i32 s13, s13, 24
	s_mul_hi_u32 s14, s12, 24
	s_mul_i32 s12, s12, 24
	s_add_i32 s14, s14, s13
	v_add_co_u32 v4, vcc_lo, v6, s12
	v_add_co_ci_u32_e64 v5, null, s14, v7, vcc_lo
	s_mov_b32 s12, exec_lo
	global_store_dwordx2 v[4:5], v[15:16], off
	s_waitcnt_vscnt null, 0x0
	global_atomic_cmpswap_x2 v[2:3], v12, v[13:16], s[6:7] offset:32 glc
	s_waitcnt vmcnt(0)
	v_cmpx_ne_u64_e64 v[2:3], v[15:16]
	s_cbranch_execz .LBB7_256
; %bb.254:
	s_mov_b32 s13, 0
.LBB7_255:                              ; =>This Inner Loop Header: Depth=1
	v_mov_b32_e32 v0, s10
	v_mov_b32_e32 v1, s11
	s_sleep 1
	global_store_dwordx2 v[4:5], v[2:3], off
	s_waitcnt_vscnt null, 0x0
	global_atomic_cmpswap_x2 v[0:1], v12, v[0:3], s[6:7] offset:32 glc
	s_waitcnt vmcnt(0)
	v_cmp_eq_u64_e32 vcc_lo, v[0:1], v[2:3]
	v_mov_b32_e32 v3, v1
	v_mov_b32_e32 v2, v0
	s_or_b32 s13, vcc_lo, s13
	s_andn2_b32 exec_lo, exec_lo, s13
	s_cbranch_execnz .LBB7_255
.LBB7_256:
	s_or_b32 exec_lo, exec_lo, s12
	v_mov_b32_e32 v3, 0
	s_mov_b32 s13, exec_lo
	s_mov_b32 s12, exec_lo
	v_mbcnt_lo_u32_b32 v2, s13, 0
	global_load_dwordx2 v[0:1], v3, s[6:7] offset:16
	v_cmpx_eq_u32_e32 0, v2
	s_cbranch_execz .LBB7_258
; %bb.257:
	s_bcnt1_i32_b32 s13, s13
	v_mov_b32_e32 v2, s13
	s_waitcnt vmcnt(0)
	global_atomic_add_x2 v[0:1], v[2:3], off offset:8
.LBB7_258:
	s_or_b32 exec_lo, exec_lo, s12
	s_waitcnt vmcnt(0)
	global_load_dwordx2 v[2:3], v[0:1], off offset:16
	s_waitcnt vmcnt(0)
	v_cmp_eq_u64_e32 vcc_lo, 0, v[2:3]
	s_cbranch_vccnz .LBB7_260
; %bb.259:
	global_load_dword v0, v[0:1], off offset:24
	v_mov_b32_e32 v1, 0
	s_waitcnt vmcnt(0)
	v_readfirstlane_b32 s12, v0
	s_waitcnt_vscnt null, 0x0
	global_store_dwordx2 v[2:3], v[0:1], off
	s_and_b32 m0, s12, 0x7fffff
	s_sendmsg sendmsg(MSG_INTERRUPT)
.LBB7_260:
	s_or_b32 exec_lo, exec_lo, s5
	s_branch .LBB7_264
	.p2align	6
.LBB7_261:                              ;   in Loop: Header=BB7_264 Depth=1
	s_or_b32 exec_lo, exec_lo, s5
	v_readfirstlane_b32 s5, v0
	s_cmp_eq_u32 s5, 0
	s_cbranch_scc1 .LBB7_263
; %bb.262:                              ;   in Loop: Header=BB7_264 Depth=1
	s_sleep 1
	s_cbranch_execnz .LBB7_264
	s_branch .LBB7_266
	.p2align	6
.LBB7_263:
	s_branch .LBB7_266
.LBB7_264:                              ; =>This Inner Loop Header: Depth=1
	v_mov_b32_e32 v0, 1
	s_and_saveexec_b32 s5, s4
	s_cbranch_execz .LBB7_261
; %bb.265:                              ;   in Loop: Header=BB7_264 Depth=1
	global_load_dword v0, v[10:11], off offset:20 glc dlc
	s_waitcnt vmcnt(0)
	buffer_gl1_inv
	buffer_gl0_inv
	v_and_b32_e32 v0, 1, v0
	s_branch .LBB7_261
.LBB7_266:
	global_load_dwordx2 v[0:1], v[8:9], off
	s_and_saveexec_b32 s12, s4
	s_cbranch_execz .LBB7_270
; %bb.267:
	v_mov_b32_e32 v8, 0
	s_clause 0x2
	global_load_dwordx2 v[2:3], v8, s[6:7] offset:40
	global_load_dwordx2 v[11:12], v8, s[6:7] offset:24 glc dlc
	global_load_dwordx2 v[4:5], v8, s[6:7]
	s_waitcnt vmcnt(2)
	v_readfirstlane_b32 s14, v2
	v_readfirstlane_b32 s15, v3
	s_add_u32 s13, s14, 1
	s_addc_u32 s16, s15, 0
	s_add_u32 s4, s13, s10
	s_addc_u32 s5, s16, s11
	s_cmp_eq_u64 s[4:5], 0
	s_cselect_b32 s5, s16, s5
	s_cselect_b32 s4, s13, s4
	v_mov_b32_e32 v10, s5
	s_and_b64 s[10:11], s[4:5], s[14:15]
	v_mov_b32_e32 v9, s4
	s_mul_i32 s11, s11, 24
	s_mul_hi_u32 s13, s10, 24
	s_mul_i32 s10, s10, 24
	s_add_i32 s13, s13, s11
	s_waitcnt vmcnt(0)
	v_add_co_u32 v6, vcc_lo, v4, s10
	v_add_co_ci_u32_e64 v7, null, s13, v5, vcc_lo
	global_store_dwordx2 v[6:7], v[11:12], off
	s_waitcnt_vscnt null, 0x0
	global_atomic_cmpswap_x2 v[4:5], v8, v[9:12], s[6:7] offset:24 glc
	s_waitcnt vmcnt(0)
	v_cmp_ne_u64_e32 vcc_lo, v[4:5], v[11:12]
	s_and_b32 exec_lo, exec_lo, vcc_lo
	s_cbranch_execz .LBB7_270
; %bb.268:
	s_mov_b32 s10, 0
.LBB7_269:                              ; =>This Inner Loop Header: Depth=1
	v_mov_b32_e32 v2, s4
	v_mov_b32_e32 v3, s5
	s_sleep 1
	global_store_dwordx2 v[6:7], v[4:5], off
	s_waitcnt_vscnt null, 0x0
	global_atomic_cmpswap_x2 v[2:3], v8, v[2:5], s[6:7] offset:24 glc
	s_waitcnt vmcnt(0)
	v_cmp_eq_u64_e32 vcc_lo, v[2:3], v[4:5]
	v_mov_b32_e32 v5, v3
	v_mov_b32_e32 v4, v2
	s_or_b32 s10, vcc_lo, s10
	s_andn2_b32 exec_lo, exec_lo, s10
	s_cbranch_execnz .LBB7_269
.LBB7_270:
	s_or_b32 exec_lo, exec_lo, s12
	s_getpc_b64 s[4:5]
	s_add_u32 s4, s4, __FUNCTION__._ZL18flash_attn_ext_vecILi64ELi1EL9ggml_type2ELS0_2ELb1EEvPKcS2_S2_S2_S2_PKiPfP15HIP_vector_typeIfLj2EEffffjfiS6_IjLj3EEiiiiiiiiiiiliiliiiiil@rel32@lo+4
	s_addc_u32 s5, s5, __FUNCTION__._ZL18flash_attn_ext_vecILi64ELi1EL9ggml_type2ELS0_2ELb1EEvPKcS2_S2_S2_S2_PKiPfP15HIP_vector_typeIfLj2EEffffjfiS6_IjLj3EEiiiiiiiiiiiliiliiiiil@rel32@hi+12
	v_mov_b32_e32 v2, s4
	s_cmp_lg_u64 s[4:5], 0
	v_mov_b32_e32 v3, s5
	s_cselect_b32 s10, 19, 0
	v_mov_b32_e32 v5, 0
	v_mov_b32_e32 v4, s10
	s_getpc_b64 s[6:7]
	s_add_u32 s6, s6, __ockl_printf_append_string_n@rel32@lo+4
	s_addc_u32 s7, s7, __ockl_printf_append_string_n@rel32@hi+12
	s_mov_b64 s[20:21], s[8:9]
	s_swappc_b64 s[30:31], s[6:7]
	v_mov_b32_e32 v2, 0x514
	v_mov_b32_e32 v3, 0
	;; [unrolled: 1-line block ×3, first 2 shown]
	s_getpc_b64 s[4:5]
	s_add_u32 s4, s4, __ockl_printf_append_args@rel32@lo+4
	s_addc_u32 s5, s5, __ockl_printf_append_args@rel32@hi+12
	s_mov_b64 s[8:9], s[20:21]
	s_swappc_b64 s[30:31], s[4:5]
	s_trap 2
.Lfunc_end7:
	.size	_ZL14no_device_codePKciS0_iS0_, .Lfunc_end7-_ZL14no_device_codePKciS0_iS0_
                                        ; -- End function
	.set .L_ZL14no_device_codePKciS0_iS0_.num_vgpr, max(40, .L__ockl_printf_append_string_n.num_vgpr, .L__ockl_printf_append_args.num_vgpr)
	.set .L_ZL14no_device_codePKciS0_iS0_.num_agpr, max(0, .L__ockl_printf_append_string_n.num_agpr, .L__ockl_printf_append_args.num_agpr)
	.set .L_ZL14no_device_codePKciS0_iS0_.numbered_sgpr, max(34, .L__ockl_printf_append_string_n.numbered_sgpr, .L__ockl_printf_append_args.numbered_sgpr)
	.set .L_ZL14no_device_codePKciS0_iS0_.num_named_barrier, max(0, .L__ockl_printf_append_string_n.num_named_barrier, .L__ockl_printf_append_args.num_named_barrier)
	.set .L_ZL14no_device_codePKciS0_iS0_.private_seg_size, 16+max(.L__ockl_printf_append_string_n.private_seg_size, .L__ockl_printf_append_args.private_seg_size)
	.set .L_ZL14no_device_codePKciS0_iS0_.uses_vcc, or(1, .L__ockl_printf_append_string_n.uses_vcc, .L__ockl_printf_append_args.uses_vcc)
	.set .L_ZL14no_device_codePKciS0_iS0_.uses_flat_scratch, or(0, .L__ockl_printf_append_string_n.uses_flat_scratch, .L__ockl_printf_append_args.uses_flat_scratch)
	.set .L_ZL14no_device_codePKciS0_iS0_.has_dyn_sized_stack, or(0, .L__ockl_printf_append_string_n.has_dyn_sized_stack, .L__ockl_printf_append_args.has_dyn_sized_stack)
	.set .L_ZL14no_device_codePKciS0_iS0_.has_recursion, or(0, .L__ockl_printf_append_string_n.has_recursion, .L__ockl_printf_append_args.has_recursion)
	.set .L_ZL14no_device_codePKciS0_iS0_.has_indirect_call, or(0, .L__ockl_printf_append_string_n.has_indirect_call, .L__ockl_printf_append_args.has_indirect_call)
	.section	.AMDGPU.csdata,"",@progbits
; Function info:
; codeLenInByte = 10460
; TotalNumSgprs: 36
; NumVgprs: 40
; ScratchSize: 16
; MemoryBound: 0
	.section	.text._ZL18flash_attn_ext_vecILi64ELi1EL9ggml_type2ELS0_2ELb1EEvPKcS2_S2_S2_S2_PKiPfP15HIP_vector_typeIfLj2EEffffjfiS6_IjLj3EEiiiiiiiiiiiliiliiiiil,"axG",@progbits,_ZL18flash_attn_ext_vecILi64ELi1EL9ggml_type2ELS0_2ELb1EEvPKcS2_S2_S2_S2_PKiPfP15HIP_vector_typeIfLj2EEffffjfiS6_IjLj3EEiiiiiiiiiiiliiliiiiil,comdat
	.globl	_ZL18flash_attn_ext_vecILi64ELi1EL9ggml_type2ELS0_2ELb1EEvPKcS2_S2_S2_S2_PKiPfP15HIP_vector_typeIfLj2EEffffjfiS6_IjLj3EEiiiiiiiiiiiliiliiiiil ; -- Begin function _ZL18flash_attn_ext_vecILi64ELi1EL9ggml_type2ELS0_2ELb1EEvPKcS2_S2_S2_S2_PKiPfP15HIP_vector_typeIfLj2EEffffjfiS6_IjLj3EEiiiiiiiiiiiliiliiiiil
	.p2align	8
	.type	_ZL18flash_attn_ext_vecILi64ELi1EL9ggml_type2ELS0_2ELb1EEvPKcS2_S2_S2_S2_PKiPfP15HIP_vector_typeIfLj2EEffffjfiS6_IjLj3EEiiiiiiiiiiiliiliiiiil,@function
_ZL18flash_attn_ext_vecILi64ELi1EL9ggml_type2ELS0_2ELb1EEvPKcS2_S2_S2_S2_PKiPfP15HIP_vector_typeIfLj2EEffffjfiS6_IjLj3EEiiiiiiiiiiiliiliiiiil: ; @_ZL18flash_attn_ext_vecILi64ELi1EL9ggml_type2ELS0_2ELb1EEvPKcS2_S2_S2_S2_PKiPfP15HIP_vector_typeIfLj2EEffffjfiS6_IjLj3EEiiiiiiiiiiiliiliiiiil
; %bb.0:
	s_add_u32 s0, s0, s7
	s_addc_u32 s1, s1, 0
	s_add_u32 s8, s4, 0xd0
	s_addc_u32 s9, s5, 0
	s_getpc_b64 s[4:5]
	s_add_u32 s4, s4, _ZL14no_device_codePKciS0_iS0_@rel32@lo+4
	s_addc_u32 s5, s5, _ZL14no_device_codePKciS0_iS0_@rel32@hi+12
	s_mov_b32 s32, 0
	s_swappc_b64 s[30:31], s[4:5]
	.section	.rodata,"a",@progbits
	.p2align	6, 0x0
	.amdhsa_kernel _ZL18flash_attn_ext_vecILi64ELi1EL9ggml_type2ELS0_2ELb1EEvPKcS2_S2_S2_S2_PKiPfP15HIP_vector_typeIfLj2EEffffjfiS6_IjLj3EEiiiiiiiiiiiliiliiiiil
		.amdhsa_group_segment_fixed_size 0
		.amdhsa_private_segment_fixed_size 16
		.amdhsa_kernarg_size 464
		.amdhsa_user_sgpr_count 6
		.amdhsa_user_sgpr_private_segment_buffer 1
		.amdhsa_user_sgpr_dispatch_ptr 0
		.amdhsa_user_sgpr_queue_ptr 0
		.amdhsa_user_sgpr_kernarg_segment_ptr 1
		.amdhsa_user_sgpr_dispatch_id 0
		.amdhsa_user_sgpr_flat_scratch_init 0
		.amdhsa_user_sgpr_private_segment_size 0
		.amdhsa_wavefront_size32 1
		.amdhsa_uses_dynamic_stack 0
		.amdhsa_system_sgpr_private_segment_wavefront_offset 1
		.amdhsa_system_sgpr_workgroup_id_x 1
		.amdhsa_system_sgpr_workgroup_id_y 0
		.amdhsa_system_sgpr_workgroup_id_z 0
		.amdhsa_system_sgpr_workgroup_info 0
		.amdhsa_system_vgpr_workitem_id 0
		.amdhsa_next_free_vgpr 40
		.amdhsa_next_free_sgpr 34
		.amdhsa_reserve_vcc 1
		.amdhsa_reserve_flat_scratch 0
		.amdhsa_float_round_mode_32 0
		.amdhsa_float_round_mode_16_64 0
		.amdhsa_float_denorm_mode_32 3
		.amdhsa_float_denorm_mode_16_64 3
		.amdhsa_dx10_clamp 1
		.amdhsa_ieee_mode 1
		.amdhsa_fp16_overflow 0
		.amdhsa_workgroup_processor_mode 1
		.amdhsa_memory_ordered 1
		.amdhsa_forward_progress 1
		.amdhsa_shared_vgpr_count 0
		.amdhsa_exception_fp_ieee_invalid_op 0
		.amdhsa_exception_fp_denorm_src 0
		.amdhsa_exception_fp_ieee_div_zero 0
		.amdhsa_exception_fp_ieee_overflow 0
		.amdhsa_exception_fp_ieee_underflow 0
		.amdhsa_exception_fp_ieee_inexact 0
		.amdhsa_exception_int_div_zero 0
	.end_amdhsa_kernel
	.section	.text._ZL18flash_attn_ext_vecILi64ELi1EL9ggml_type2ELS0_2ELb1EEvPKcS2_S2_S2_S2_PKiPfP15HIP_vector_typeIfLj2EEffffjfiS6_IjLj3EEiiiiiiiiiiiliiliiiiil,"axG",@progbits,_ZL18flash_attn_ext_vecILi64ELi1EL9ggml_type2ELS0_2ELb1EEvPKcS2_S2_S2_S2_PKiPfP15HIP_vector_typeIfLj2EEffffjfiS6_IjLj3EEiiiiiiiiiiiliiliiiiil,comdat
.Lfunc_end8:
	.size	_ZL18flash_attn_ext_vecILi64ELi1EL9ggml_type2ELS0_2ELb1EEvPKcS2_S2_S2_S2_PKiPfP15HIP_vector_typeIfLj2EEffffjfiS6_IjLj3EEiiiiiiiiiiiliiliiiiil, .Lfunc_end8-_ZL18flash_attn_ext_vecILi64ELi1EL9ggml_type2ELS0_2ELb1EEvPKcS2_S2_S2_S2_PKiPfP15HIP_vector_typeIfLj2EEffffjfiS6_IjLj3EEiiiiiiiiiiiliiliiiiil
                                        ; -- End function
	.set _ZL18flash_attn_ext_vecILi64ELi1EL9ggml_type2ELS0_2ELb1EEvPKcS2_S2_S2_S2_PKiPfP15HIP_vector_typeIfLj2EEffffjfiS6_IjLj3EEiiiiiiiiiiiliiliiiiil.num_vgpr, max(0, .L_ZL14no_device_codePKciS0_iS0_.num_vgpr)
	.set _ZL18flash_attn_ext_vecILi64ELi1EL9ggml_type2ELS0_2ELb1EEvPKcS2_S2_S2_S2_PKiPfP15HIP_vector_typeIfLj2EEffffjfiS6_IjLj3EEiiiiiiiiiiiliiliiiiil.num_agpr, max(0, .L_ZL14no_device_codePKciS0_iS0_.num_agpr)
	.set _ZL18flash_attn_ext_vecILi64ELi1EL9ggml_type2ELS0_2ELb1EEvPKcS2_S2_S2_S2_PKiPfP15HIP_vector_typeIfLj2EEffffjfiS6_IjLj3EEiiiiiiiiiiiliiliiiiil.numbered_sgpr, max(33, .L_ZL14no_device_codePKciS0_iS0_.numbered_sgpr)
	.set _ZL18flash_attn_ext_vecILi64ELi1EL9ggml_type2ELS0_2ELb1EEvPKcS2_S2_S2_S2_PKiPfP15HIP_vector_typeIfLj2EEffffjfiS6_IjLj3EEiiiiiiiiiiiliiliiiiil.num_named_barrier, max(0, .L_ZL14no_device_codePKciS0_iS0_.num_named_barrier)
	.set _ZL18flash_attn_ext_vecILi64ELi1EL9ggml_type2ELS0_2ELb1EEvPKcS2_S2_S2_S2_PKiPfP15HIP_vector_typeIfLj2EEffffjfiS6_IjLj3EEiiiiiiiiiiiliiliiiiil.private_seg_size, 0+max(.L_ZL14no_device_codePKciS0_iS0_.private_seg_size)
	.set _ZL18flash_attn_ext_vecILi64ELi1EL9ggml_type2ELS0_2ELb1EEvPKcS2_S2_S2_S2_PKiPfP15HIP_vector_typeIfLj2EEffffjfiS6_IjLj3EEiiiiiiiiiiiliiliiiiil.uses_vcc, or(1, .L_ZL14no_device_codePKciS0_iS0_.uses_vcc)
	.set _ZL18flash_attn_ext_vecILi64ELi1EL9ggml_type2ELS0_2ELb1EEvPKcS2_S2_S2_S2_PKiPfP15HIP_vector_typeIfLj2EEffffjfiS6_IjLj3EEiiiiiiiiiiiliiliiiiil.uses_flat_scratch, or(0, .L_ZL14no_device_codePKciS0_iS0_.uses_flat_scratch)
	.set _ZL18flash_attn_ext_vecILi64ELi1EL9ggml_type2ELS0_2ELb1EEvPKcS2_S2_S2_S2_PKiPfP15HIP_vector_typeIfLj2EEffffjfiS6_IjLj3EEiiiiiiiiiiiliiliiiiil.has_dyn_sized_stack, or(0, .L_ZL14no_device_codePKciS0_iS0_.has_dyn_sized_stack)
	.set _ZL18flash_attn_ext_vecILi64ELi1EL9ggml_type2ELS0_2ELb1EEvPKcS2_S2_S2_S2_PKiPfP15HIP_vector_typeIfLj2EEffffjfiS6_IjLj3EEiiiiiiiiiiiliiliiiiil.has_recursion, or(0, .L_ZL14no_device_codePKciS0_iS0_.has_recursion)
	.set _ZL18flash_attn_ext_vecILi64ELi1EL9ggml_type2ELS0_2ELb1EEvPKcS2_S2_S2_S2_PKiPfP15HIP_vector_typeIfLj2EEffffjfiS6_IjLj3EEiiiiiiiiiiiliiliiiiil.has_indirect_call, or(0, .L_ZL14no_device_codePKciS0_iS0_.has_indirect_call)
	.section	.AMDGPU.csdata,"",@progbits
; Kernel info:
; codeLenInByte = 48
; TotalNumSgprs: 36
; NumVgprs: 40
; ScratchSize: 16
; MemoryBound: 0
; FloatMode: 240
; IeeeMode: 1
; LDSByteSize: 0 bytes/workgroup (compile time only)
; SGPRBlocks: 0
; VGPRBlocks: 4
; NumSGPRsForWavesPerEU: 36
; NumVGPRsForWavesPerEU: 40
; Occupancy: 16
; WaveLimiterHint : 1
; COMPUTE_PGM_RSRC2:SCRATCH_EN: 1
; COMPUTE_PGM_RSRC2:USER_SGPR: 6
; COMPUTE_PGM_RSRC2:TRAP_HANDLER: 0
; COMPUTE_PGM_RSRC2:TGID_X_EN: 1
; COMPUTE_PGM_RSRC2:TGID_Y_EN: 0
; COMPUTE_PGM_RSRC2:TGID_Z_EN: 0
; COMPUTE_PGM_RSRC2:TIDIG_COMP_CNT: 0
	.section	.text._ZL18flash_attn_ext_vecILi64ELi2EL9ggml_type2ELS0_2ELb0EEvPKcS2_S2_S2_S2_PKiPfP15HIP_vector_typeIfLj2EEffffjfiS6_IjLj3EEiiiiiiiiiiiliiliiiiil,"axG",@progbits,_ZL18flash_attn_ext_vecILi64ELi2EL9ggml_type2ELS0_2ELb0EEvPKcS2_S2_S2_S2_PKiPfP15HIP_vector_typeIfLj2EEffffjfiS6_IjLj3EEiiiiiiiiiiiliiliiiiil,comdat
	.globl	_ZL18flash_attn_ext_vecILi64ELi2EL9ggml_type2ELS0_2ELb0EEvPKcS2_S2_S2_S2_PKiPfP15HIP_vector_typeIfLj2EEffffjfiS6_IjLj3EEiiiiiiiiiiiliiliiiiil ; -- Begin function _ZL18flash_attn_ext_vecILi64ELi2EL9ggml_type2ELS0_2ELb0EEvPKcS2_S2_S2_S2_PKiPfP15HIP_vector_typeIfLj2EEffffjfiS6_IjLj3EEiiiiiiiiiiiliiliiiiil
	.p2align	8
	.type	_ZL18flash_attn_ext_vecILi64ELi2EL9ggml_type2ELS0_2ELb0EEvPKcS2_S2_S2_S2_PKiPfP15HIP_vector_typeIfLj2EEffffjfiS6_IjLj3EEiiiiiiiiiiiliiliiiiil,@function
_ZL18flash_attn_ext_vecILi64ELi2EL9ggml_type2ELS0_2ELb0EEvPKcS2_S2_S2_S2_PKiPfP15HIP_vector_typeIfLj2EEffffjfiS6_IjLj3EEiiiiiiiiiiiliiliiiiil: ; @_ZL18flash_attn_ext_vecILi64ELi2EL9ggml_type2ELS0_2ELb0EEvPKcS2_S2_S2_S2_PKiPfP15HIP_vector_typeIfLj2EEffffjfiS6_IjLj3EEiiiiiiiiiiiliiliiiiil
; %bb.0:
	s_clause 0x2
	s_load_dwordx2 s[36:37], s[6:7], 0x64
	s_load_dwordx2 s[40:41], s[6:7], 0x80
	;; [unrolled: 1-line block ×3, first 2 shown]
	s_mov_b32 s34, s9
	s_load_dwordx4 s[28:31], s[6:7], 0x40
	v_mov_b32_e32 v36, 1.0
	s_waitcnt lgkmcnt(0)
	v_cvt_f32_u32_e32 v3, s37
	s_sub_i32 s1, 0, s37
	v_rcp_iflag_f32_e32 v3, v3
	v_mul_f32_e32 v3, 0x4f7ffffe, v3
	v_cvt_u32_f32_e32 v3, v3
	v_readfirstlane_b32 s0, v3
	s_mul_i32 s1, s1, s0
	s_mul_hi_u32 s1, s0, s1
	s_add_i32 s0, s0, s1
	s_mul_hi_u32 s0, s10, s0
	s_mul_i32 s1, s0, s37
	s_add_i32 s2, s0, 1
	s_sub_i32 s1, s10, s1
	s_sub_i32 s3, s1, s37
	s_cmp_ge_u32 s1, s37
	s_cselect_b32 s0, s2, s0
	s_cselect_b32 s1, s3, s1
	s_add_i32 s2, s0, 1
	s_cmp_ge_u32 s1, s37
	s_cselect_b32 s33, s2, s0
	s_abs_i32 s0, s41
	s_abs_i32 s9, s37
	v_cvt_f32_u32_e32 v3, s0
	s_sub_i32 s2, 0, s0
	s_xor_b32 s3, s37, s41
	s_ashr_i32 s3, s3, 31
	v_rcp_iflag_f32_e32 v3, v3
	v_mul_f32_e32 v3, 0x4f7ffffe, v3
	v_cvt_u32_f32_e32 v3, v3
	v_readfirstlane_b32 s1, v3
	s_mul_i32 s2, s2, s1
	s_mul_hi_u32 s2, s1, s2
	s_add_i32 s1, s1, s2
	s_mul_i32 s2, s33, s37
	s_mul_hi_u32 s1, s9, s1
	s_sub_i32 s38, s10, s2
	s_mul_i32 s11, s1, s0
	s_sub_i32 s2, s9, s11
	s_add_i32 s9, s1, 1
	s_sub_i32 s10, s2, s0
	s_cmp_ge_u32 s2, s0
	s_cselect_b32 s1, s9, s1
	s_cselect_b32 s2, s10, s2
	s_add_i32 s9, s1, 1
	s_cmp_ge_u32 s2, s0
	s_cselect_b32 s0, s9, s1
	s_abs_i32 s35, s42
	s_xor_b32 s0, s0, s3
	v_cvt_f32_u32_e32 v3, s35
	s_sub_i32 s41, s0, s3
	s_load_dword s0, s[6:7], 0x50
	s_abs_i32 s39, s41
	v_cmp_le_f32_e64 s1, s29, 0
	v_cvt_f32_u32_e32 v4, s39
	v_rcp_iflag_f32_e32 v3, v3
	s_and_b32 vcc_lo, exec_lo, s1
	v_rcp_iflag_f32_e32 v4, v4
	v_mul_f32_e32 v3, 0x4f7ffffe, v3
	v_mul_f32_e32 v4, 0x4f7ffffe, v4
	v_cvt_u32_f32_e32 v3, v3
	v_cvt_u32_f32_e32 v4, v4
	v_readfirstlane_b32 s29, v3
	v_readfirstlane_b32 s42, v4
	s_cbranch_vccnz .LBB9_2
; %bb.1:
	s_waitcnt lgkmcnt(0)
	v_sub_co_u32 v4, vcc_lo, s38, s0
	v_mov_b32_e32 v3, s30
	s_add_i32 s0, s38, 1
	v_lshlrev_b32_e32 v4, 1, v4
	v_cndmask_b32_e32 v3, s31, v3, vcc_lo
	v_or_b32_e32 v4, 1, v4
	v_cndmask_b32_e64 v4, v4, s0, vcc_lo
	v_cmp_neq_f32_e32 vcc_lo, 1.0, v3
	s_mov_b32 s0, 0x3e76c4e1
	v_cvt_f32_i32_e32 v4, v4
	v_cndmask_b32_e32 v5, 1.0, v4, vcc_lo
	v_cmp_neq_f32_e32 vcc_lo, 0, v5
	v_cndmask_b32_e32 v6, 1.0, v3, vcc_lo
	v_frexp_mant_f32_e64 v3, |v6|
	v_cmp_eq_f32_e64 s2, 0, v6
	v_cmp_gt_f32_e32 vcc_lo, 0x3f2aaaab, v3
	v_cndmask_b32_e64 v4, 1.0, 2.0, vcc_lo
	v_mul_f32_e32 v3, v3, v4
	v_add_f32_e32 v4, 1.0, v3
	v_add_f32_e32 v8, -1.0, v3
	v_rcp_f32_e32 v7, v4
	v_add_f32_e32 v10, -1.0, v4
	v_sub_f32_e32 v3, v3, v10
	v_mul_f32_e32 v9, v8, v7
	v_mul_f32_e32 v11, v4, v9
	v_fma_f32 v4, v9, v4, -v11
	v_fmac_f32_e32 v4, v9, v3
	v_add_f32_e32 v3, v11, v4
	v_sub_f32_e32 v10, v8, v3
	v_sub_f32_e32 v11, v3, v11
	;; [unrolled: 1-line block ×5, first 2 shown]
	v_add_f32_e32 v3, v4, v3
	v_add_f32_e32 v3, v10, v3
	v_mul_f32_e32 v3, v7, v3
	v_add_f32_e32 v7, v9, v3
	v_sub_f32_e32 v4, v7, v9
	v_mul_f32_e32 v8, v7, v7
	v_sub_f32_e32 v9, v3, v4
	v_fma_f32 v3, v7, v7, -v8
	v_add_f32_e32 v4, v9, v9
	v_fmac_f32_e32 v3, v7, v4
	v_add_f32_e32 v10, v8, v3
	v_fmaak_f32 v4, s0, v10, 0x3e91f4c4
	v_sub_f32_e32 v8, v10, v8
	v_mul_f32_e32 v15, v7, v10
	v_fmaak_f32 v4, v10, v4, 0x3ecccdef
	v_sub_f32_e32 v8, v3, v8
	v_fma_f32 v16, v10, v7, -v15
	v_mul_f32_e32 v11, v10, v4
	v_fmac_f32_e32 v16, v10, v9
	v_ldexp_f32 v9, v9, 1
	v_fma_f32 v12, v10, v4, -v11
	v_fmac_f32_e32 v16, v8, v7
	v_fmac_f32_e32 v12, v8, v4
	v_cvt_f64_f32_e64 v[3:4], |v6|
	v_add_f32_e32 v13, v11, v12
	v_sub_f32_e32 v11, v13, v11
	v_add_f32_e32 v14, 0x3f2aaaaa, v13
	v_sub_f32_e32 v11, v12, v11
	v_add_f32_e32 v12, 0xbf2aaaaa, v14
	v_add_f32_e32 v11, 0x31739010, v11
	v_sub_f32_e32 v12, v13, v12
	v_frexp_exp_i32_f64_e32 v3, v[3:4]
	v_add_f32_e32 v10, v11, v12
	v_add_f32_e32 v11, v15, v16
	;; [unrolled: 1-line block ×3, first 2 shown]
	v_sub_f32_e32 v13, v11, v15
	v_sub_f32_e32 v4, v14, v8
	v_mul_f32_e32 v12, v11, v8
	v_sub_f32_e32 v13, v16, v13
	v_add_f32_e32 v4, v10, v4
	v_fma_f32 v10, v11, v8, -v12
	v_subrev_co_ci_u32_e64 v3, null, 0, v3, vcc_lo
	v_fmac_f32_e32 v10, v11, v4
	v_ldexp_f32 v4, v7, 1
	v_cvt_f32_i32_e32 v3, v3
	v_fmac_f32_e32 v10, v13, v8
	v_add_f32_e32 v7, v12, v10
	v_add_f32_e32 v8, v4, v7
	v_sub_f32_e32 v11, v7, v12
	v_mul_f32_e32 v12, 0x3f317218, v3
	v_sub_f32_e32 v4, v8, v4
	v_sub_f32_e32 v10, v10, v11
	v_fma_f32 v11, 0x3f317218, v3, -v12
	v_sub_f32_e32 v4, v7, v4
	v_add_f32_e32 v7, v9, v10
	v_fmamk_f32 v3, v3, 0xb102e308, v11
	v_add_f32_e32 v4, v7, v4
	v_add_f32_e32 v7, v12, v3
	;; [unrolled: 1-line block ×3, first 2 shown]
	v_sub_f32_e32 v12, v7, v12
	v_add_f32_e32 v10, v7, v9
	v_sub_f32_e32 v8, v9, v8
	v_sub_f32_e32 v3, v3, v12
	;; [unrolled: 1-line block ×6, first 2 shown]
	v_add_f32_e32 v9, v3, v4
	v_sub_f32_e32 v7, v7, v13
	v_add_f32_e32 v7, v8, v7
	v_sub_f32_e32 v8, v9, v3
	;; [unrolled: 2-line block ×3, first 2 shown]
	v_sub_f32_e32 v4, v4, v8
	v_add_f32_e32 v11, v10, v7
	v_sub_f32_e32 v3, v3, v9
	v_sub_f32_e32 v8, v11, v10
	v_add_f32_e32 v3, v4, v3
	v_sub_f32_e32 v4, v7, v8
	v_add_f32_e32 v3, v3, v4
	v_add_f32_e32 v4, v11, v3
	v_sub_f32_e32 v7, v4, v11
	v_mul_f32_e32 v8, v5, v4
	v_sub_f32_e32 v3, v3, v7
	v_fma_f32 v4, v5, v4, -v8
	v_cmp_class_f32_e64 vcc_lo, v8, 0x204
	v_fmac_f32_e32 v4, v5, v3
	v_add_f32_e32 v3, v8, v4
	v_cndmask_b32_e32 v7, v3, v8, vcc_lo
	v_sub_f32_e32 v3, v3, v8
	v_cmp_eq_f32_e32 vcc_lo, 0x42b17218, v7
	v_sub_f32_e32 v3, v4, v3
	v_cndmask_b32_e64 v9, 0, 0x37000000, vcc_lo
	v_cmp_neq_f32_e64 vcc_lo, 0x7f800000, |v7|
	v_sub_f32_e32 v10, v7, v9
	v_cndmask_b32_e32 v3, 0, v3, vcc_lo
	v_trunc_f32_e32 v7, v5
	v_mul_f32_e32 v11, 0x3fb8aa3b, v10
	v_cmp_ngt_f32_e32 vcc_lo, 0xc2ce8ed0, v10
	v_add_f32_e32 v3, v9, v3
	v_fma_f32 v12, 0x3fb8aa3b, v10, -v11
	v_rndne_f32_e32 v13, v11
	v_fmamk_f32 v12, v10, 0x32a5705f, v12
	v_sub_f32_e32 v11, v11, v13
	v_cvt_i32_f32_e32 v8, v13
	v_add_f32_e32 v11, v11, v12
	v_exp_f32_e32 v11, v11
	v_ldexp_f32 v4, v11, v8
	v_mul_f32_e32 v8, 0.5, v5
	v_cndmask_b32_e32 v4, 0, v4, vcc_lo
	v_cmp_nlt_f32_e32 vcc_lo, 0x42b17218, v10
	v_trunc_f32_e32 v11, v8
	v_cndmask_b32_e32 v4, 0x7f800000, v4, vcc_lo
	v_cmp_eq_f32_e32 vcc_lo, v7, v5
	v_cmp_neq_f32_e64 s0, v11, v8
	v_fma_f32 v3, v4, v3, v4
	v_cmp_class_f32_e64 s1, v4, 0x204
	s_and_b32 s0, vcc_lo, s0
	v_cndmask_b32_e64 v7, 1.0, v6, s0
	v_cndmask_b32_e64 v3, v3, v4, s1
	v_cmp_gt_f32_e64 s1, 0, v5
	v_bfi_b32 v3, 0x7fffffff, v3, v7
	s_xor_b32 s1, s1, s2
	v_cndmask_b32_e64 v7, 0, v6, s0
	v_cndmask_b32_e64 v4, 0x7f800000, 0, s1
	v_cmp_class_f32_e64 s0, v6, 0x204
	v_cndmask_b32_e32 v5, 0x7fc00000, v3, vcc_lo
	v_cmp_gt_f32_e32 vcc_lo, 0, v6
	v_bfi_b32 v4, 0x7fffffff, v4, v7
	v_cndmask_b32_e32 v3, v3, v5, vcc_lo
	s_or_b32 vcc_lo, s2, s0
	v_cndmask_b32_e32 v3, v3, v4, vcc_lo
	v_cmp_o_f32_e32 vcc_lo, v6, v6
	v_cndmask_b32_e32 v36, 0x7fc00000, v3, vcc_lo
.LBB9_2:
	s_waitcnt lgkmcnt(0)
	s_load_dwordx2 s[0:1], s[4:5], 0x4
	s_load_dwordx16 s[12:27], s[6:7], 0x0
	v_mov_b32_e32 v6, 0
	v_lshlrev_b32_e32 v34, 2, v0
	s_lshl_b32 s30, s8, 1
	s_mov_b32 s4, exec_lo
	s_waitcnt lgkmcnt(0)
	v_mul_u32_u24_e32 v3, s1, v1
	s_lshr_b32 s0, s0, 16
	s_mul_i32 s0, s0, s1
	v_mad_u32_u24 v3, s0, v0, v3
	v_cmp_lt_u32_e64 s0, 1, v1
	v_add_lshl_u32 v11, v3, v2, 4
	v_add_nc_u32_e32 v2, 0x604, v11
	v_add_nc_u32_e32 v3, 0x400, v11
	ds_write2_b32 v2, v6, v6 offset1:1
	ds_write2_b32 v3, v6, v6 offset0:128 offset1:131
	v_cmpx_gt_u32_e32 2, v1
	s_cbranch_execz .LBB9_23
; %bb.3:
	v_lshlrev_b32_e32 v5, 7, v1
	v_or_b32_e32 v2, s30, v1
	s_mov_b32 s2, exec_lo
	v_cmp_gt_u32_e32 vcc_lo, 16, v0
	v_add_nc_u32_e32 v4, v5, v34
	v_cmpx_le_i32_e64 s36, v2
	s_xor_b32 s2, exec_lo, s2
	s_cbranch_execz .LBB9_9
; %bb.4:
	s_and_saveexec_b32 s1, vcc_lo
; %bb.5:
	v_mov_b32_e32 v2, 0
	ds_write_b32 v4, v2
; %bb.6:
	s_or_b32 exec_lo, exec_lo, s1
	s_mov_b32 s3, exec_lo
	v_cmpx_gt_u32_e32 2, v0
	s_cbranch_execz .LBB9_8
; %bb.7:
	v_mov_b32_e32 v2, 0
	v_add_nc_u32_e32 v4, v4, v34
	v_mov_b32_e32 v3, v2
	ds_write_b64 v4, v[2:3] offset:64
.LBB9_8:
	s_or_b32 exec_lo, exec_lo, s3
                                        ; implicit-def: $vgpr4
                                        ; implicit-def: $vgpr5
.LBB9_9:
	s_andn2_saveexec_b32 s1, s2
	s_cbranch_execz .LBB9_23
; %bb.10:
	s_load_dwordx4 s[44:47], s[6:7], 0x70
	v_lshlrev_b32_e32 v3, 2, v34
	s_waitcnt lgkmcnt(0)
	v_mul_lo_u32 v2, s44, v1
	s_mul_i32 s1, s33, s46
	s_mul_i32 s2, s44, s30
	;; [unrolled: 1-line block ×3, first 2 shown]
	s_add_i32 s1, s1, s2
	s_add_i32 s1, s1, s3
	s_ashr_i32 s2, s1, 31
	v_ashrrev_i32_e32 v7, 31, v2
	s_add_u32 s1, s12, s1
	s_addc_u32 s2, s13, s2
	v_add_co_u32 v2, s1, s1, v2
	v_add_co_ci_u32_e64 v8, null, s2, v7, s1
	v_mov_b32_e32 v7, 0
	v_add_co_u32 v2, s1, v2, v3
	v_add_co_ci_u32_e64 v3, null, 0, v8, s1
	v_mov_b32_e32 v8, 0
	s_and_saveexec_b32 s1, vcc_lo
	s_cbranch_execz .LBB9_12
; %bb.11:
	global_load_dword v8, v[2:3], off
	s_waitcnt vmcnt(0)
	v_mul_f32_e32 v8, s28, v8
.LBB9_12:
	s_or_b32 exec_lo, exec_lo, s1
	s_and_saveexec_b32 s1, vcc_lo
	s_cbranch_execz .LBB9_14
; %bb.13:
	global_load_dword v7, v[2:3], off offset:4
	s_waitcnt vmcnt(0)
	v_mul_f32_e32 v7, s28, v7
.LBB9_14:
	s_or_b32 exec_lo, exec_lo, s1
	v_mov_b32_e32 v9, 0
	v_mov_b32_e32 v10, 0
	s_and_saveexec_b32 s1, vcc_lo
	s_cbranch_execz .LBB9_16
; %bb.15:
	global_load_dword v10, v[2:3], off offset:8
	s_waitcnt vmcnt(0)
	v_mul_f32_e32 v10, s28, v10
.LBB9_16:
	s_or_b32 exec_lo, exec_lo, s1
	s_and_saveexec_b32 s1, vcc_lo
	s_cbranch_execz .LBB9_18
; %bb.17:
	global_load_dword v2, v[2:3], off offset:12
	s_waitcnt vmcnt(0)
	v_mul_f32_e32 v9, s28, v2
.LBB9_18:
	s_or_b32 exec_lo, exec_lo, s1
	v_mbcnt_lo_u32_b32 v2, -1, 0
	v_max_f32_e64 v3, |v7|, |v7|
	v_max_f32_e64 v12, |v8|, |v8|
	s_mov_b32 s5, exec_lo
	v_xor_b32_e32 v13, 4, v2
	v_xor_b32_e32 v14, 2, v2
	v_max_f32_e32 v3, v12, v3
	v_xor_b32_e32 v15, 1, v2
	v_cmp_gt_i32_e32 vcc_lo, 32, v13
	v_max3_f32 v3, v3, |v10|, |v9|
	v_cndmask_b32_e32 v12, v2, v13, vcc_lo
	v_cmp_gt_i32_e32 vcc_lo, 32, v14
	v_lshlrev_b32_e32 v12, 2, v12
	v_cndmask_b32_e32 v14, v2, v14, vcc_lo
	v_cmp_gt_i32_e32 vcc_lo, 32, v15
	ds_bpermute_b32 v13, v12, v3
	v_lshlrev_b32_e32 v14, 2, v14
	v_cndmask_b32_e32 v2, v2, v15, vcc_lo
	v_add_f32_e32 v15, v8, v7
	v_lshlrev_b32_e32 v2, 2, v2
	v_add_f32_e32 v15, v15, v10
	v_add_f32_e32 v15, v15, v9
	ds_bpermute_b32 v12, v12, v15
	s_waitcnt lgkmcnt(1)
	v_max_f32_e32 v13, v13, v13
	v_max_f32_e32 v3, v3, v13
	ds_bpermute_b32 v13, v14, v3
	s_waitcnt lgkmcnt(0)
	v_max_f32_e32 v13, v13, v13
	v_max_f32_e32 v3, v3, v13
	;; [unrolled: 4-line block ×3, first 2 shown]
	v_add_f32_e32 v3, v15, v12
	v_div_scale_f32 v16, null, 0x42fe0000, 0x42fe0000, v13
	ds_bpermute_b32 v14, v14, v3
	v_div_scale_f32 v15, vcc_lo, v13, 0x42fe0000, v13
	v_rcp_f32_e32 v17, v16
	v_fma_f32 v12, -v16, v17, 1.0
	v_fmac_f32_e32 v17, v12, v17
	s_waitcnt lgkmcnt(0)
	v_add_f32_e32 v3, v3, v14
	v_mul_f32_e32 v18, v15, v17
	v_fma_f32 v12, -v16, v18, v15
	v_fmac_f32_e32 v18, v12, v17
	ds_bpermute_b32 v12, v2, v3
	v_fma_f32 v2, -v16, v18, v15
	v_div_fmas_f32 v2, v2, v17, v18
	v_div_fixup_f32 v2, v2, 0x42fe0000, v13
	v_mov_b32_e32 v13, 0
	v_cmpx_neq_f32_e32 0, v2
	s_cbranch_execz .LBB9_20
; %bb.19:
	v_div_scale_f32 v13, null, v2, v2, v8
	v_div_scale_f32 v14, null, v2, v2, v7
	;; [unrolled: 1-line block ×3, first 2 shown]
	v_rcp_f32_e32 v15, v13
	v_div_scale_f32 v17, null, v2, v2, v9
	v_rcp_f32_e32 v18, v14
	v_rcp_f32_e32 v19, v16
	v_div_scale_f32 v23, vcc_lo, v8, v2, v8
	v_rcp_f32_e32 v20, v17
	v_fma_f32 v21, -v13, v15, 1.0
	v_fma_f32 v22, -v14, v18, 1.0
	;; [unrolled: 1-line block ×3, first 2 shown]
	v_fmac_f32_e32 v15, v21, v15
	v_div_scale_f32 v21, s1, v7, v2, v7
	v_fma_f32 v25, -v17, v20, 1.0
	v_fmac_f32_e32 v18, v22, v18
	v_fmac_f32_e32 v19, v24, v19
	v_div_scale_f32 v22, s2, v10, v2, v10
	v_fmac_f32_e32 v20, v25, v20
	v_mul_f32_e32 v25, v23, v15
	v_mul_f32_e32 v26, v21, v18
	;; [unrolled: 1-line block ×3, first 2 shown]
	v_div_scale_f32 v24, s3, v9, v2, v9
	v_fma_f32 v29, -v13, v25, v23
	v_fma_f32 v30, -v14, v26, v21
	;; [unrolled: 1-line block ×3, first 2 shown]
	v_mul_f32_e32 v28, v24, v20
	v_fmac_f32_e32 v25, v29, v15
	v_fmac_f32_e32 v26, v30, v18
	;; [unrolled: 1-line block ×3, first 2 shown]
	v_fma_f32 v32, -v17, v28, v24
	v_fma_f32 v13, -v13, v25, v23
	;; [unrolled: 1-line block ×4, first 2 shown]
	v_fmac_f32_e32 v28, v32, v20
	v_div_fmas_f32 v13, v13, v15, v25
	s_mov_b32 vcc_lo, s1
	v_div_fmas_f32 v14, v14, v18, v26
	s_mov_b32 vcc_lo, s2
	v_div_fixup_f32 v8, v13, v2, v8
	v_div_fmas_f32 v15, v16, v19, v27
	v_fma_f32 v16, -v17, v28, v24
	s_mov_b32 vcc_lo, s3
	v_div_fixup_f32 v7, v14, v2, v7
	v_div_fixup_f32 v10, v15, v2, v10
	v_div_fmas_f32 v15, v16, v20, v28
	v_trunc_f32_e32 v14, v7
	v_trunc_f32_e32 v16, v10
	v_div_fixup_f32 v9, v15, v2, v9
	v_trunc_f32_e32 v15, v8
	v_sub_f32_e32 v18, v7, v14
	v_sub_f32_e32 v13, v10, v16
	v_trunc_f32_e32 v17, v9
	v_sub_f32_e32 v20, v8, v15
	v_cmp_ge_f32_e64 s1, |v13|, 0.5
	v_sub_f32_e32 v19, v9, v17
	v_cndmask_b32_e64 v13, 0, 1.0, s1
	v_cmp_ge_f32_e64 s1, |v18|, 0.5
	v_bfi_b32 v10, 0x7fffffff, v13, v10
	v_cndmask_b32_e64 v13, 0, 1.0, s1
	v_cmp_ge_f32_e64 s1, |v19|, 0.5
	v_add_f32_e32 v10, v16, v10
	v_bfi_b32 v7, 0x7fffffff, v13, v7
	v_cndmask_b32_e64 v18, 0, 1.0, s1
	v_cmp_ge_f32_e64 s1, |v20|, 0.5
	v_mov_b32_e32 v13, 8
	v_cvt_i32_f32_e32 v10, v10
	v_add_f32_e32 v7, v14, v7
	v_bfi_b32 v9, 0x7fffffff, v18, v9
	v_cndmask_b32_e64 v16, 0, 1.0, s1
	v_and_b32_e32 v10, 0xff, v10
	v_cvt_i32_f32_e32 v7, v7
	v_add_f32_e32 v9, v17, v9
	v_bfi_b32 v8, 0x7fffffff, v16, v8
	v_lshlrev_b32_e32 v10, 16, v10
	v_lshlrev_b32_sdwa v7, v13, v7 dst_sel:DWORD dst_unused:UNUSED_PAD src0_sel:DWORD src1_sel:BYTE_0
	v_cvt_i32_f32_e32 v9, v9
	v_add_f32_e32 v8, v15, v8
	v_lshl_or_b32 v9, v9, 24, v10
	v_cvt_i32_f32_e32 v8, v8
	v_and_b32_e32 v8, 0xff, v8
	v_or3_b32 v13, v9, v7, v8
.LBB9_20:
	s_or_b32 exec_lo, exec_lo, s5
	v_and_b32_e32 v7, 0x77, v0
	s_mov_b32 s1, exec_lo
	ds_write_b32 v4, v13
	v_cmpx_eq_u32_e32 0, v7
	s_cbranch_execz .LBB9_22
; %bb.21:
	s_waitcnt lgkmcnt(1)
	v_add_f32_e32 v3, v3, v12
	v_add_nc_u32_e32 v4, v5, v0
	ds_write_b64 v4, v[2:3] offset:64
.LBB9_22:
	s_or_b32 exec_lo, exec_lo, s1
.LBB9_23:
	s_or_b32 exec_lo, exec_lo, s4
	s_waitcnt lgkmcnt(1)
	v_and_b32_e32 v12, 1, v0
	s_waitcnt lgkmcnt(0)
	s_barrier
	buffer_gl0_inv
	s_cmp_eq_u64 s[22:23], 0
	v_lshlrev_b32_e32 v10, 2, v12
	s_mov_b32 s31, s40
	ds_read2_b32 v[14:15], v10 offset1:2
	ds_read2_b32 v[16:17], v10 offset0:4 offset1:6
	ds_read2_b32 v[18:19], v10 offset0:8 offset1:10
	;; [unrolled: 1-line block ×4, first 2 shown]
	ds_read_b128 v[2:5], v6 offset:64
	ds_read_b128 v[6:9], v6 offset:192
	ds_read2_b32 v[24:25], v10 offset0:36 offset1:38
	ds_read2_b32 v[26:27], v10 offset0:40 offset1:42
	;; [unrolled: 1-line block ×3, first 2 shown]
	s_waitcnt lgkmcnt(0)
	s_barrier
	buffer_gl0_inv
	s_cbranch_scc1 .LBB9_25
; %bb.24:
	s_load_dword s1, s[6:7], 0xd0
	s_mov_b32 s3, 0
	s_waitcnt lgkmcnt(0)
	s_mul_i32 s1, s1, s33
	s_add_i32 s2, s1, s8
	s_lshl_b64 s[2:3], s[2:3], 2
	s_add_u32 s2, s22, s2
	s_addc_u32 s3, s23, s3
	s_load_dword s31, s[2:3], 0x0
.LBB9_25:
	v_lshlrev_b32_e32 v30, 5, v1
	v_add_nc_u32_e32 v35, 0x600, v11
	v_mbcnt_lo_u32_b32 v37, -1, 0
	s_lshl_b32 s2, s34, 7
	s_mov_b32 s3, 0
	v_add_nc_u32_e32 v32, v30, v0
	s_waitcnt lgkmcnt(0)
	s_cmp_ge_i32 s2, s31
	v_lshlrev_b32_e32 v33, 1, v32
	s_cbranch_scc1 .LBB9_37
; %bb.26:
	s_clause 0x1
	s_load_dwordx4 s[8:11], s[6:7], 0x98
	s_load_dwordx2 s[12:13], s[6:7], 0x8c
	s_sub_i32 s1, 0, s39
	s_sub_i32 s4, 0, s35
	s_mul_i32 s1, s1, s42
	s_abs_i32 s5, s38
	s_mul_hi_u32 s1, s42, s1
	s_mul_i32 s4, s4, s29
	s_add_i32 s42, s42, s1
	s_ashr_i32 s53, s33, 31
	s_mul_hi_u32 s1, s29, s4
	s_mul_hi_u32 s4, s5, s42
	s_ashr_i32 s28, s41, 31
	s_add_i32 s29, s29, s1
	s_mul_i32 s1, s4, s39
	s_ashr_i32 s23, s38, 31
	s_sub_i32 s1, s5, s1
	s_abs_i32 s22, s33
	s_xor_b32 s23, s23, s28
	s_add_i32 s28, s4, 1
	s_waitcnt lgkmcnt(0)
	s_mul_hi_u32 s41, s8, s33
	s_mul_i32 s42, s8, s53
	s_mul_i32 s9, s9, s33
	s_add_i32 s44, s41, s42
	s_sub_i32 s5, s1, s39
	s_add_i32 s44, s44, s9
	s_cmp_ge_u32 s1, s39
	v_and_b32_e32 v11, 0x7e, v0
	s_cselect_b32 s9, s28, s4
	s_cselect_b32 s1, s5, s1
	s_add_i32 s28, s9, 1
	s_cmp_ge_u32 s1, s39
	s_load_dwordx2 s[4:5], s[6:7], 0xc8
	s_cselect_b32 s1, s28, s9
	s_mul_hi_u32 s9, s22, s29
	s_xor_b32 s1, s1, s23
	s_mul_i32 s9, s9, s35
	s_sub_i32 s45, s1, s23
	s_sub_i32 s1, s22, s9
	s_mul_i32 s47, s45, s13
	s_mul_i32 s45, s45, s11
	s_ashr_i32 s48, s47, 31
	s_ashr_i32 s46, s45, 31
	s_sub_i32 s9, s1, s35
	s_cmp_ge_u32 s1, s35
	s_clause 0x1
	s_load_dword s22, s[6:7], 0xd4
	s_load_dwordx2 s[28:29], s[6:7], 0xa8
	s_cselect_b32 s1, s9, s1
	s_mul_i32 s11, s43, s30
	s_sub_i32 s9, s1, s35
	s_cmp_ge_u32 s1, s35
	v_add_nc_u32_e32 v11, v30, v11
	s_cselect_b32 s1, s9, s1
	s_mul_i32 s43, s8, s33
	s_xor_b32 s1, s1, s53
	v_lshrrev_b32_e32 v31, 4, v0
	s_sub_i32 s1, s1, s53
	v_add_nc_u32_e32 v38, s40, v11
	s_ashr_i32 s9, s1, 31
	s_waitcnt lgkmcnt(0)
	s_mul_hi_u32 s13, s4, s1
	s_mul_i32 s9, s4, s9
	s_mul_i32 s5, s5, s1
	s_add_i32 s41, s13, s9
	s_ashr_i32 s13, s11, 31
	s_add_i32 s41, s41, s5
	s_cmp_lg_u64 s[18:19], 0
	s_mul_i32 s42, s4, s1
	s_cselect_b32 s5, -1, 0
	s_lshl_b32 s4, s22, 7
	s_cmp_lt_i32 s30, s36
	v_bfe_u32 v40, v0, 3, 1
	s_cselect_b32 s1, -1, 0
	s_or_b32 s8, s30, 1
	s_and_b32 s35, s5, s1
	s_cmp_lt_i32 s8, s36
	v_ashrrev_i32_e32 v39, 31, v38
	s_cselect_b32 s8, -1, 0
	v_cmp_eq_u32_e64 s1, 0, v12
	s_and_b32 s39, s5, s8
	s_ashr_i32 s5, s40, 31
	s_add_u32 s8, s14, s47
	v_or_b32_e32 v13, v30, v31
	v_add_nc_u32_e32 v12, v30, v31
	s_addc_u32 s9, s15, s48
	v_lshlrev_b64 v[30:31], 1, v[38:39]
	v_mul_hi_u32_u24_e32 v39, 18, v40
	v_mul_u32_u24_e32 v38, 18, v40
	s_add_u32 s49, s8, s43
	s_addc_u32 s50, s9, s44
	s_lshl_b64 s[22:23], s[2:3], 1
	v_add_nc_u32_e32 v43, 30, v12
	s_add_u32 s51, s18, s22
	s_addc_u32 s52, s19, s23
	v_mad_u64_u32 v[40:41], null, s28, s33, v[38:39]
	s_add_u32 s51, s51, s42
	s_addc_u32 s52, s52, s41
	v_add_co_u32 v38, vcc_lo, s51, v30
	v_add_nc_u32_e32 v30, 28, v12
	v_add_co_ci_u32_e64 v39, null, s52, v31, vcc_lo
	v_mul_lo_u32 v31, s10, v43
	v_and_b32_e32 v42, 12, v34
	s_mul_i32 s29, s29, s33
	s_mul_i32 s28, s28, s53
	v_add_nc_u32_e32 v43, 26, v12
	v_add3_u32 v41, s28, s29, v41
	v_mul_lo_u32 v30, s10, v30
	v_add_co_u32 v42, vcc_lo, v40, v42
	v_add_nc_u32_e32 v44, 24, v12
	v_add_co_ci_u32_e64 v46, null, 0, v41, vcc_lo
	v_mul_lo_u32 v43, s10, v43
	v_ashrrev_i32_e32 v49, 31, v31
	v_add_nc_u32_e32 v45, 22, v12
	v_add_co_u32 v72, vcc_lo, v42, v31
	v_mul_lo_u32 v44, s10, v44
	v_ashrrev_i32_e32 v50, 31, v30
	v_add_co_ci_u32_e64 v73, null, v46, v49, vcc_lo
	v_add_co_u32 v74, vcc_lo, v40, v31
	v_add_nc_u32_e32 v47, 20, v12
	v_add_co_ci_u32_e64 v75, null, v41, v49, vcc_lo
	v_add_co_u32 v76, vcc_lo, v42, v30
	v_mul_lo_u32 v45, s10, v45
	v_ashrrev_i32_e32 v51, 31, v43
	v_add_co_ci_u32_e64 v77, null, v46, v50, vcc_lo
	v_add_co_u32 v78, vcc_lo, v40, v30
	v_add_nc_u32_e32 v48, 18, v12
	v_add_co_ci_u32_e64 v79, null, v41, v50, vcc_lo
	;; [unrolled: 7-line block ×4, first 2 shown]
	v_add_co_u32 v88, vcc_lo, v42, v45
	v_ashrrev_i32_e32 v56, 31, v47
	v_mul_lo_u32 v53, s10, v53
	v_add_co_ci_u32_e64 v89, null, v46, v54, vcc_lo
	v_add_co_u32 v90, vcc_lo, v40, v45
	v_add_nc_u32_e32 v57, 12, v12
	v_add_co_ci_u32_e64 v91, null, v41, v54, vcc_lo
	v_add_co_u32 v92, vcc_lo, v42, v47
	v_ashrrev_i32_e32 v58, 31, v48
	v_mul_lo_u32 v55, s10, v55
	v_add_co_ci_u32_e64 v93, null, v46, v56, vcc_lo
	v_add_co_u32 v94, vcc_lo, v40, v47
	v_add_nc_u32_e32 v59, 10, v12
	v_add_co_ci_u32_e64 v95, null, v41, v56, vcc_lo
	v_add_co_u32 v96, vcc_lo, v42, v48
	v_mul_lo_u32 v57, s10, v57
	v_ashrrev_i32_e32 v64, 31, v53
	v_add_co_ci_u32_e64 v97, null, v46, v58, vcc_lo
	v_add_co_u32 v98, vcc_lo, v40, v48
	v_add_nc_u32_e32 v60, 8, v12
	v_add_co_ci_u32_e64 v99, null, v41, v58, vcc_lo
	v_add_co_u32 v100, vcc_lo, v42, v53
	v_mul_lo_u32 v59, s10, v59
	v_ashrrev_i32_e32 v65, 31, v55
	;; [unrolled: 7-line block ×5, first 2 shown]
	v_add_co_ci_u32_e64 v113, null, v46, v67, vcc_lo
	v_add_co_u32 v114, vcc_lo, v40, v59
	v_add_co_ci_u32_e64 v115, null, v41, v67, vcc_lo
	v_add_co_u32 v116, vcc_lo, v42, v60
	v_mul_lo_u32 v63, s10, v63
	v_ashrrev_i32_e32 v69, 31, v61
	v_add_co_ci_u32_e64 v117, null, v46, v68, vcc_lo
	v_add_co_u32 v118, vcc_lo, v40, v60
	v_add_co_ci_u32_e64 v119, null, v41, v68, vcc_lo
	v_add_co_u32 v120, vcc_lo, v42, v61
	v_ashrrev_i32_e32 v70, 31, v62
	v_add_co_ci_u32_e64 v121, null, v46, v69, vcc_lo
	v_add_co_u32 v122, vcc_lo, v40, v61
	v_add_co_ci_u32_e64 v123, null, v41, v69, vcc_lo
	v_add_co_u32 v124, vcc_lo, v42, v62
	v_ashrrev_i32_e32 v71, 31, v63
	v_add_co_ci_u32_e64 v125, null, v46, v70, vcc_lo
	v_add_co_u32 v126, vcc_lo, v40, v62
	v_mul_lo_u32 v43, s10, v12
	v_add_co_ci_u32_e64 v127, null, v41, v70, vcc_lo
	v_add_co_u32 v128, vcc_lo, v42, v63
	v_add_co_ci_u32_e64 v129, null, v46, v71, vcc_lo
	v_add_co_u32 v130, vcc_lo, v40, v63
	;; [unrolled: 2-line block ×3, first 2 shown]
	v_add_co_ci_u32_e64 v44, null, s46, v46, vcc_lo
	v_ashrrev_i32_e32 v45, 31, v43
	v_and_b32_e32 v46, 30, v37
	v_add_co_u32 v40, vcc_lo, v40, s45
	v_add_co_u32 v30, s28, s40, v11
	v_add_co_ci_u32_e64 v41, null, s46, v41, vcc_lo
	v_add_co_u32 v132, vcc_lo, v42, v43
	v_add_co_ci_u32_e64 v31, null, s5, 0, s28
	v_add_co_ci_u32_e64 v133, null, v44, v45, vcc_lo
	v_add_nc_u32_e32 v42, 2, v46
	v_xor_b32_e32 v44, 1, v37
	v_add_co_u32 v40, vcc_lo, v40, v43
	v_lshlrev_b64 v[30:31], 1, v[30:31]
	v_add_co_ci_u32_e64 v41, null, v41, v45, vcc_lo
	v_cmp_lt_i32_e32 vcc_lo, v44, v42
	v_xor_b32_e32 v43, 2, v37
	v_mul_lo_u32 v55, v11, s12
	v_xor_b32_e32 v45, 8, v37
	v_xor_b32_e32 v46, 16, v37
	v_cndmask_b32_e32 v42, v37, v44, vcc_lo
	v_add_co_u32 v30, vcc_lo, s51, v30
	v_add_co_ci_u32_e64 v31, null, s52, v31, vcc_lo
	v_xor_b32_e32 v44, 4, v37
	v_cmp_gt_i32_e32 vcc_lo, 32, v43
	v_add_nc_u32_e32 v51, s12, v55
	s_mov_b32 s5, s3
	v_add_co_u32 v10, s3, s43, v10
	v_cndmask_b32_e32 v43, v37, v43, vcc_lo
	v_cmp_gt_i32_e32 vcc_lo, 32, v44
	v_lshlrev_b32_e32 v47, 1, v13
	v_ashrrev_i32_e32 v13, 31, v51
	v_add_co_ci_u32_e64 v49, null, s44, 0, s3
	v_cndmask_b32_e32 v44, v37, v44, vcc_lo
	v_cmp_gt_i32_e32 vcc_lo, 32, v45
	v_lshlrev_b32_e32 v48, 1, v12
	v_ashrrev_i32_e32 v56, 31, v55
	v_lshlrev_b32_e32 v42, 2, v42
	v_lshlrev_b32_e32 v43, 2, v43
	v_cndmask_b32_e32 v45, v37, v45, vcc_lo
	v_cmp_gt_i32_e32 vcc_lo, 32, v46
	v_lshlrev_b32_e32 v44, 2, v44
	s_mul_i32 s28, s10, s2
	s_mul_i32 s10, s4, s10
	v_lshlrev_b32_e32 v45, 2, v45
	v_cndmask_b32_e32 v46, v37, v46, vcc_lo
	v_add_co_u32 v12, vcc_lo, v10, v51
	v_add_co_ci_u32_e64 v50, null, v49, v13, vcc_lo
	v_add_co_u32 v10, vcc_lo, v10, s47
	v_add_co_ci_u32_e64 v52, null, s48, v49, vcc_lo
	;; [unrolled: 2-line block ×4, first 2 shown]
	s_lshl_b64 s[8:9], s[4:5], 1
	v_add_co_u32 v51, vcc_lo, s49, v51
	s_add_u32 s3, s43, s47
	s_addc_u32 s5, s44, s48
	v_add_co_ci_u32_e64 v52, null, s50, v13, vcc_lo
	v_add_co_u32 v53, vcc_lo, s14, v10
	s_add_u32 s3, s14, s3
	s_addc_u32 s5, s15, s5
	v_add_co_ci_u32_e64 v54, null, s15, v12, vcc_lo
	v_add_co_u32 v10, vcc_lo, s3, v55
	s_add_u32 s3, s16, s45
	v_add_co_ci_u32_e64 v12, null, s5, v56, vcc_lo
	s_addc_u32 s5, s17, s46
	v_add_co_u32 v13, vcc_lo, s3, v72
	v_add_co_ci_u32_e64 v58, null, s5, v73, vcc_lo
	v_add_co_u32 v55, vcc_lo, v10, 18
	v_add_co_ci_u32_e64 v56, null, 0, v12, vcc_lo
	v_add_co_u32 v57, vcc_lo, v13, 2
	v_add_co_ci_u32_e64 v58, null, 0, v58, vcc_lo
	v_add_co_u32 v10, vcc_lo, s3, v76
	v_add_co_ci_u32_e64 v12, null, s5, v77, vcc_lo
	v_add_co_u32 v59, vcc_lo, s3, v74
	v_add_co_ci_u32_e64 v60, null, s5, v75, vcc_lo
	v_add_co_u32 v61, vcc_lo, v10, 2
	v_add_co_ci_u32_e64 v62, null, 0, v12, vcc_lo
	v_add_co_u32 v10, vcc_lo, s3, v80
	v_add_co_ci_u32_e64 v12, null, s5, v81, vcc_lo
	v_add_co_u32 v63, vcc_lo, s3, v78
	v_add_co_ci_u32_e64 v64, null, s5, v79, vcc_lo
	v_add_co_u32 v65, vcc_lo, v10, 2
	v_add_co_ci_u32_e64 v66, null, 0, v12, vcc_lo
	v_add_co_u32 v10, vcc_lo, s3, v84
	v_add_co_ci_u32_e64 v12, null, s5, v85, vcc_lo
	v_add_co_u32 v67, vcc_lo, s3, v82
	v_add_co_ci_u32_e64 v68, null, s5, v83, vcc_lo
	v_add_co_u32 v69, vcc_lo, v10, 2
	v_add_co_ci_u32_e64 v70, null, 0, v12, vcc_lo
	v_add_co_u32 v10, vcc_lo, s3, v88
	v_add_co_ci_u32_e64 v12, null, s5, v89, vcc_lo
	v_add_co_u32 v71, vcc_lo, s3, v86
	v_add_co_ci_u32_e64 v72, null, s5, v87, vcc_lo
	v_add_co_u32 v73, vcc_lo, v10, 2
	v_add_co_ci_u32_e64 v74, null, 0, v12, vcc_lo
	v_add_co_u32 v10, vcc_lo, s3, v92
	v_add_co_ci_u32_e64 v12, null, s5, v93, vcc_lo
	v_add_co_u32 v75, vcc_lo, s3, v90
	v_add_co_ci_u32_e64 v76, null, s5, v91, vcc_lo
	v_add_co_u32 v77, vcc_lo, v10, 2
	v_add_co_ci_u32_e64 v78, null, 0, v12, vcc_lo
	v_add_co_u32 v10, vcc_lo, s3, v96
	v_add_co_ci_u32_e64 v12, null, s5, v97, vcc_lo
	v_add_co_u32 v79, vcc_lo, s3, v94
	v_add_co_ci_u32_e64 v80, null, s5, v95, vcc_lo
	v_add_co_u32 v81, vcc_lo, v10, 2
	v_add_co_ci_u32_e64 v82, null, 0, v12, vcc_lo
	v_add_co_u32 v10, vcc_lo, s3, v100
	v_add_co_ci_u32_e64 v12, null, s5, v101, vcc_lo
	v_add_co_u32 v83, vcc_lo, s3, v98
	v_add_co_ci_u32_e64 v84, null, s5, v99, vcc_lo
	v_add_co_u32 v85, vcc_lo, v10, 2
	v_add_co_ci_u32_e64 v86, null, 0, v12, vcc_lo
	v_add_co_u32 v10, vcc_lo, s3, v104
	v_add_co_ci_u32_e64 v12, null, s5, v105, vcc_lo
	v_add_co_u32 v87, vcc_lo, s3, v102
	v_add_co_ci_u32_e64 v88, null, s5, v103, vcc_lo
	v_add_co_u32 v89, vcc_lo, v10, 2
	v_add_co_ci_u32_e64 v90, null, 0, v12, vcc_lo
	v_add_co_u32 v10, vcc_lo, s3, v108
	v_add_co_ci_u32_e64 v12, null, s5, v109, vcc_lo
	v_add_co_u32 v91, vcc_lo, s3, v106
	v_add_co_ci_u32_e64 v92, null, s5, v107, vcc_lo
	v_add_co_u32 v93, vcc_lo, v10, 2
	v_add_co_ci_u32_e64 v94, null, 0, v12, vcc_lo
	v_add_co_u32 v10, vcc_lo, s3, v112
	v_add_co_ci_u32_e64 v12, null, s5, v113, vcc_lo
	v_add_co_u32 v95, vcc_lo, s3, v110
	v_add_co_ci_u32_e64 v96, null, s5, v111, vcc_lo
	v_add_co_u32 v97, vcc_lo, v10, 2
	v_add_co_ci_u32_e64 v98, null, 0, v12, vcc_lo
	v_add_co_u32 v10, vcc_lo, s3, v116
	v_add_co_ci_u32_e64 v12, null, s5, v117, vcc_lo
	v_add_co_u32 v99, vcc_lo, s3, v114
	v_add_co_ci_u32_e64 v100, null, s5, v115, vcc_lo
	v_add_co_u32 v101, vcc_lo, v10, 2
	v_add_co_ci_u32_e64 v102, null, 0, v12, vcc_lo
	v_add_co_u32 v10, vcc_lo, s3, v120
	v_add_co_ci_u32_e64 v12, null, s5, v121, vcc_lo
	v_add_co_u32 v103, vcc_lo, s3, v118
	v_add_co_ci_u32_e64 v104, null, s5, v119, vcc_lo
	v_add_co_u32 v105, vcc_lo, v10, 2
	v_add_co_ci_u32_e64 v106, null, 0, v12, vcc_lo
	v_add_co_u32 v10, vcc_lo, s3, v124
	v_add_co_ci_u32_e64 v12, null, s5, v125, vcc_lo
	v_add_co_u32 v107, vcc_lo, s3, v122
	v_add_co_ci_u32_e64 v108, null, s5, v123, vcc_lo
	v_add_co_u32 v109, vcc_lo, v10, 2
	v_add_co_ci_u32_e64 v110, null, 0, v12, vcc_lo
	v_add_co_u32 v10, vcc_lo, s3, v128
	v_add_co_ci_u32_e64 v12, null, s5, v129, vcc_lo
	v_add_co_u32 v111, vcc_lo, s3, v126
	v_add_co_ci_u32_e64 v112, null, s5, v127, vcc_lo
	v_add_co_u32 v113, vcc_lo, v10, 2
	v_add_co_ci_u32_e64 v114, null, 0, v12, vcc_lo
	v_add_co_u32 v10, vcc_lo, s16, v132
	v_add_co_ci_u32_e64 v12, null, s17, v133, vcc_lo
	v_add_co_u32 v115, vcc_lo, s3, v130
	v_add_co_ci_u32_e64 v116, null, s5, v131, vcc_lo
	v_add_co_u32 v117, vcc_lo, v10, 2
	v_lshlrev_b32_e32 v10, 1, v11
	s_add_u32 s3, s42, s22
	s_addc_u32 s5, s41, s23
	s_add_u32 s3, s18, s3
	v_add_co_ci_u32_e64 v118, null, 0, v12, vcc_lo
	v_add_co_u32 v119, vcc_lo, s16, v40
	v_add_co_u32 v40, s3, s3, v10
	ds_read_b128 v[10:13], v35
	s_addc_u32 s5, s19, s5
	v_add_co_ci_u32_e64 v120, null, s17, v41, vcc_lo
	v_add_co_ci_u32_e64 v41, null, s5, 0, s3
	v_add_co_u32 v121, vcc_lo, v30, 2
	v_add_co_ci_u32_e64 v122, null, 0, v31, vcc_lo
	v_add_co_u32 v123, vcc_lo, v40, 2
	v_lshlrev_b32_e32 v46, 2, v46
	v_add_co_ci_u32_e64 v124, null, 0, v41, vcc_lo
	v_mov_b32_e32 v40, 0
	v_and_b32_e32 v125, 4, v0
	v_mov_b32_e32 v129, 0xfeffffff
	v_mov_b32_e32 v126, 0x10001
	;; [unrolled: 1-line block ×5, first 2 shown]
	s_mul_i32 s3, s12, s2
	s_mul_i32 s5, s4, s12
.LBB9_27:                               ; =>This Inner Loop Header: Depth=1
	v_add_co_u32 v30, vcc_lo, v55, s3
	v_add_co_ci_u32_e64 v31, null, 0, v56, vcc_lo
	v_add_co_u32 v131, vcc_lo, v53, s3
	v_add_co_ci_u32_e64 v132, null, 0, v54, vcc_lo
	v_mov_b32_e32 v140, 0
	s_and_b32 vcc_lo, exec_lo, s35
	global_load_dword v130, v[131:132], off offset:2
	global_load_ushort v136, v[30:31], off offset:-18
	s_clause 0x1
	global_load_dword v133, v[131:132], off offset:10
	global_load_dword v139, v[131:132], off offset:20
	s_waitcnt vmcnt(3)
	v_and_b32_e32 v138, 0xf0f0f0f, v130
	v_lshrrev_b32_e32 v130, 4, v130
	s_waitcnt vmcnt(1)
	v_and_b32_e32 v137, 0xf0f0f0f, v133
	v_and_b32_e32 v135, 0xf0f0f0f, v130
	v_lshrrev_b32_e32 v130, 4, v133
	s_waitcnt vmcnt(0)
	v_and_b32_e32 v133, 0xf0f0f0f, v139
	v_and_b32_e32 v134, 0xf0f0f0f, v130
	global_load_ushort v130, v[30:31], off
	global_load_dword v30, v[131:132], off offset:28
	v_lshrrev_b32_e32 v31, 4, v139
	v_mov_b32_e32 v139, 0
	v_dot4c_i32_i8 v140, v134, v17
	v_and_b32_e32 v131, 0xf0f0f0f, v31
	v_dot4c_i32_i8 v139, v137, v15
	v_cvt_f32_i32_e32 v140, v140
	v_cvt_f32_i32_e32 v139, v139
	v_fma_f32 v140, v2, v140, -v3
	v_fma_f32 v139, v2, v139, -v3
	s_waitcnt vmcnt(0)
	v_and_b32_e32 v132, 0xf0f0f0f, v30
	v_lshrrev_b32_e32 v30, 4, v30
	v_and_b32_e32 v31, 0xf0f0f0f, v30
	v_mov_b32_e32 v30, 0
	v_dot4c_i32_i8 v30, v138, v14
	v_cvt_f32_i32_e32 v30, v30
	v_fma_f32 v30, v2, v30, -v3
	v_fma_mix_f32 v30, v30, v136, 0 op_sel_hi:[0,1,0]
	v_fma_mix_f32 v30, v139, v136, v30 op_sel_hi:[0,1,0]
	v_mov_b32_e32 v139, 0
	v_dot4c_i32_i8 v139, v135, v16
	v_cvt_f32_i32_e32 v139, v139
	v_fma_f32 v139, v2, v139, -v3
	v_fma_mix_f32 v30, v139, v136, v30 op_sel_hi:[0,1,0]
	v_mov_b32_e32 v139, 0
	v_fma_mix_f32 v30, v140, v136, v30 op_sel_hi:[0,1,0]
	v_dot4c_i32_i8 v139, v133, v18
	v_mov_b32_e32 v140, 0
	v_cvt_f32_i32_e32 v139, v139
	v_dot4c_i32_i8 v140, v132, v19
	v_fma_f32 v139, v4, v139, -v5
	v_cvt_f32_i32_e32 v140, v140
	v_fma_mix_f32 v30, v139, v130, v30 op_sel_hi:[0,1,0]
	v_fma_f32 v140, v4, v140, -v5
	v_mov_b32_e32 v139, 0
	v_fma_mix_f32 v30, v140, v130, v30 op_sel_hi:[0,1,0]
	v_dot4c_i32_i8 v139, v131, v20
	v_mov_b32_e32 v140, 0
	v_cvt_f32_i32_e32 v139, v139
	v_dot4c_i32_i8 v140, v31, v21
	v_fma_f32 v139, v4, v139, -v5
	v_cvt_f32_i32_e32 v140, v140
	v_fma_mix_f32 v30, v139, v130, v30 op_sel_hi:[0,1,0]
	v_fma_f32 v140, v4, v140, -v5
	v_fma_mix_f32 v30, v140, v130, v30 op_sel_hi:[0,1,0]
	ds_bpermute_b32 v139, v42, v30
	s_waitcnt lgkmcnt(0)
	v_add_f32_e32 v30, v30, v139
	s_cbranch_vccz .LBB9_29
; %bb.28:                               ;   in Loop: Header=BB9_27 Depth=1
	v_add_co_u32 v139, vcc_lo, v123, s11
	v_add_co_ci_u32_e64 v140, null, s13, v124, vcc_lo
	global_load_ushort v139, v[139:140], off offset:-2
	s_waitcnt vmcnt(0)
	v_fma_mix_f32 v30, v36, v139, v30 op_sel_hi:[0,1,0]
.LBB9_29:                               ;   in Loop: Header=BB9_27 Depth=1
	v_mov_b32_e32 v139, 0
	v_mov_b32_e32 v140, 0
	v_cvt_f32_f16_e32 v136, v136
	v_cvt_f32_f16_e32 v130, v130
	s_andn2_b32 vcc_lo, exec_lo, s39
	v_dot4c_i32_i8 v139, v138, v22
	v_mov_b32_e32 v138, 0
	v_dot4c_i32_i8 v140, v137, v23
	v_cvt_f32_i32_e32 v137, v139
	v_mov_b32_e32 v139, 0
	v_dot4c_i32_i8 v138, v135, v24
	v_cvt_f32_i32_e32 v135, v140
	v_mov_b32_e32 v140, 0
	v_fma_f32 v137, v6, v137, -v7
	v_dot4c_i32_i8 v139, v134, v25
	v_cvt_f32_i32_e32 v134, v138
	v_fma_f32 v135, v6, v135, -v7
	v_mov_b32_e32 v138, 0
	v_fma_f32 v137, v137, v136, 0
	v_dot4c_i32_i8 v140, v133, v26
	v_cvt_f32_i32_e32 v133, v139
	v_fma_f32 v134, v6, v134, -v7
	v_dot4c_i32_i8 v138, v132, v27
	v_fmac_f32_e32 v137, v135, v136
	v_mov_b32_e32 v135, 0
	v_cvt_f32_i32_e32 v132, v140
	v_fma_f32 v133, v6, v133, -v7
	v_fmac_f32_e32 v137, v134, v136
	v_dot4c_i32_i8 v135, v131, v28
	v_cvt_f32_i32_e32 v131, v138
	v_fma_f32 v132, v8, v132, -v9
	v_fmac_f32_e32 v137, v133, v136
	v_mov_b32_e32 v133, 0
	v_cvt_f32_i32_e32 v134, v135
	v_fma_f32 v131, v8, v131, -v9
	v_fmac_f32_e32 v137, v132, v130
	v_dot4c_i32_i8 v133, v31, v29
	v_fma_f32 v31, v8, v134, -v9
	v_fmac_f32_e32 v137, v131, v130
	v_cvt_f32_i32_e32 v131, v133
	v_fmac_f32_e32 v137, v31, v130
	v_fma_f32 v31, v8, v131, -v9
	v_fmac_f32_e32 v137, v31, v130
	ds_bpermute_b32 v31, v42, v137
	s_waitcnt lgkmcnt(0)
	v_add_f32_e32 v31, v137, v31
	s_cbranch_vccnz .LBB9_31
; %bb.30:                               ;   in Loop: Header=BB9_27 Depth=1
	v_add_co_u32 v130, vcc_lo, v38, s11
	v_add_co_ci_u32_e64 v131, null, s13, v39, vcc_lo
	global_load_ushort v130, v[130:131], off
	s_waitcnt vmcnt(0)
	v_fma_mix_f32 v31, v36, v130, v31 op_sel_hi:[0,1,0]
.LBB9_31:                               ;   in Loop: Header=BB9_27 Depth=1
	v_add_co_u32 v130, vcc_lo, v49, s3
	v_add_co_ci_u32_e64 v131, null, 0, v50, vcc_lo
	v_add_co_u32 v132, vcc_lo, v51, s3
	v_add_co_ci_u32_e64 v133, null, 0, v52, vcc_lo
	s_clause 0x3
	global_load_dword v134, v[130:131], off offset:2
	global_load_dword v135, v[130:131], off offset:10
	global_load_dword v136, v[130:131], off offset:20
	global_load_dword v141, v[130:131], off offset:28
	s_clause 0x1
	global_load_ushort v131, v[132:133], off
	global_load_ushort v130, v[132:133], off offset:18
	v_mov_b32_e32 v132, 0
	v_mov_b32_e32 v133, 0
	;; [unrolled: 1-line block ×8, first 2 shown]
	s_andn2_b32 vcc_lo, exec_lo, s35
	s_waitcnt vmcnt(5)
	v_and_b32_e32 v138, 0xf0f0f0f, v134
	s_waitcnt vmcnt(4)
	v_and_b32_e32 v140, 0xf0f0f0f, v135
	v_lshrrev_b32_e32 v134, 4, v134
	v_lshrrev_b32_e32 v137, 4, v135
	s_waitcnt vmcnt(3)
	v_and_b32_e32 v135, 0xf0f0f0f, v136
	v_dot4c_i32_i8 v132, v138, v14
	v_dot4c_i32_i8 v133, v140, v15
	v_and_b32_e32 v139, 0xf0f0f0f, v134
	v_and_b32_e32 v137, 0xf0f0f0f, v137
	s_waitcnt vmcnt(2)
	v_and_b32_e32 v134, 0xf0f0f0f, v141
	v_cvt_f32_i32_e32 v132, v132
	v_cvt_f32_i32_e32 v133, v133
	v_dot4c_i32_i8 v142, v139, v16
	v_dot4c_i32_i8 v143, v137, v17
	v_lshrrev_b32_e32 v136, 4, v136
	v_fma_f32 v132, v2, v132, -v3
	v_fma_f32 v133, v2, v133, -v3
	v_cvt_f32_i32_e32 v142, v142
	v_dot4c_i32_i8 v144, v135, v18
	v_cvt_f32_i32_e32 v143, v143
	s_waitcnt vmcnt(1)
	v_fma_mix_f32 v132, v132, v131, 0 op_sel_hi:[0,1,0]
	v_dot4c_i32_i8 v145, v134, v19
	v_fma_f32 v142, v2, v142, -v3
	v_and_b32_e32 v136, 0xf0f0f0f, v136
	v_fma_f32 v143, v2, v143, -v3
	v_fma_mix_f32 v132, v133, v131, v132 op_sel_hi:[0,1,0]
	v_lshrrev_b32_e32 v133, 4, v141
	v_cvt_f32_i32_e32 v141, v144
	v_dot4c_i32_i8 v146, v136, v20
	v_fma_mix_f32 v132, v142, v131, v132 op_sel_hi:[0,1,0]
	v_and_b32_e32 v133, 0xf0f0f0f, v133
	v_cvt_f32_i32_e32 v142, v145
	v_fma_f32 v141, v4, v141, -v5
	v_fma_mix_f32 v132, v143, v131, v132 op_sel_hi:[0,1,0]
	v_dot4c_i32_i8 v147, v133, v21
	v_fma_f32 v142, v4, v142, -v5
	s_waitcnt vmcnt(0)
	v_fma_mix_f32 v132, v141, v130, v132 op_sel_hi:[0,1,0]
	v_cvt_f32_i32_e32 v141, v146
	v_cvt_f32_i32_e32 v143, v147
	v_fma_mix_f32 v132, v142, v130, v132 op_sel_hi:[0,1,0]
	v_fma_f32 v141, v4, v141, -v5
	v_fma_f32 v142, v4, v143, -v5
	v_fma_mix_f32 v132, v141, v130, v132 op_sel_hi:[0,1,0]
	v_fma_mix_f32 v132, v142, v130, v132 op_sel_hi:[0,1,0]
	ds_bpermute_b32 v141, v42, v132
	s_waitcnt lgkmcnt(0)
	v_add_f32_e32 v132, v132, v141
	s_cbranch_vccnz .LBB9_33
; %bb.32:                               ;   in Loop: Header=BB9_27 Depth=1
	v_add_co_u32 v141, vcc_lo, v123, s11
	v_add_co_ci_u32_e64 v142, null, s13, v124, vcc_lo
	global_load_ushort v141, v[141:142], off
	s_waitcnt vmcnt(0)
	v_fma_mix_f32 v132, v36, v141, v132 op_sel_hi:[0,1,0]
.LBB9_33:                               ;   in Loop: Header=BB9_27 Depth=1
	v_mov_b32_e32 v141, 0
	v_mov_b32_e32 v142, 0
	v_cvt_f32_f16_e32 v131, v131
	v_cvt_f32_f16_e32 v130, v130
	s_andn2_b32 vcc_lo, exec_lo, s39
	v_dot4c_i32_i8 v141, v138, v22
	v_mov_b32_e32 v138, 0
	v_dot4c_i32_i8 v142, v140, v23
	v_cvt_f32_i32_e32 v140, v141
	v_mov_b32_e32 v141, 0
	v_dot4c_i32_i8 v138, v139, v24
	v_cvt_f32_i32_e32 v139, v142
	v_mov_b32_e32 v142, 0
	v_fma_f32 v140, v6, v140, -v7
	v_dot4c_i32_i8 v141, v137, v25
	v_cvt_f32_i32_e32 v137, v138
	v_fma_f32 v138, v6, v139, -v7
	v_dot4c_i32_i8 v142, v135, v26
	v_fma_f32 v139, v140, v131, 0
	v_mov_b32_e32 v140, 0
	v_cvt_f32_i32_e32 v135, v141
	v_fma_f32 v137, v6, v137, -v7
	v_fmac_f32_e32 v139, v138, v131
	v_mov_b32_e32 v138, 0
	v_dot4c_i32_i8 v140, v134, v27
	v_cvt_f32_i32_e32 v134, v142
	v_fma_f32 v135, v6, v135, -v7
	v_fmac_f32_e32 v139, v137, v131
	v_dot4c_i32_i8 v138, v136, v28
	v_cvt_f32_i32_e32 v136, v140
	v_fma_f32 v134, v8, v134, -v9
	v_fmac_f32_e32 v139, v135, v131
	v_mov_b32_e32 v131, 0
	v_cvt_f32_i32_e32 v135, v138
	v_fma_f32 v136, v8, v136, -v9
	v_fmac_f32_e32 v139, v134, v130
	v_dot4c_i32_i8 v131, v133, v29
	v_fma_f32 v133, v8, v135, -v9
	v_fmac_f32_e32 v139, v136, v130
	v_cvt_f32_i32_e32 v131, v131
	v_fmac_f32_e32 v139, v133, v130
	v_fma_f32 v131, v8, v131, -v9
	v_fmac_f32_e32 v139, v131, v130
	ds_bpermute_b32 v130, v42, v139
	s_waitcnt lgkmcnt(0)
	v_add_f32_e32 v130, v139, v130
	s_cbranch_vccnz .LBB9_35
; %bb.34:                               ;   in Loop: Header=BB9_27 Depth=1
	v_add_co_u32 v133, vcc_lo, v121, s11
	v_add_co_ci_u32_e64 v134, null, s13, v122, vcc_lo
	global_load_ushort v131, v[133:134], off
	s_waitcnt vmcnt(0)
	v_fma_mix_f32 v130, v36, v131, v130 op_sel_hi:[0,1,0]
.LBB9_35:                               ;   in Loop: Header=BB9_27 Depth=1
	v_cndmask_b32_e64 v127, v127, v30, s1
	v_add_f32_e32 v30, 0x40051340, v30
	v_add_f32_e32 v131, 0x40051340, v132
	;; [unrolled: 1-line block ×3, first 2 shown]
	v_cndmask_b32_e64 v130, v130, v31, s1
	s_add_i32 s2, s2, s4
	v_max3_f32 v30, v129, v30, v131
	v_add_f32_e32 v131, 0x40051340, v31
	v_cndmask_b32_e64 v31, v132, v127, s1
	s_cmp_ge_i32 s2, s31
	ds_bpermute_b32 v127, v43, v30
	v_max3_f32 v131, v128, v131, v133
	s_waitcnt lgkmcnt(0)
	v_max_f32_e32 v127, v127, v127
	v_max_f32_e32 v30, v30, v127
	ds_bpermute_b32 v127, v44, v30
	s_waitcnt lgkmcnt(0)
	v_max_f32_e32 v127, v127, v127
	v_max_f32_e32 v30, v30, v127
	ds_bpermute_b32 v127, v45, v30
	s_waitcnt lgkmcnt(0)
	v_max_f32_e32 v127, v127, v127
	v_max_f32_e32 v30, v30, v127
	ds_bpermute_b32 v127, v46, v30
	s_waitcnt lgkmcnt(0)
	v_max_f32_e32 v127, v127, v127
	v_max_f32_e32 v30, v30, v127
	v_sub_f32_e32 v127, v129, v30
	v_sub_f32_e32 v31, v31, v30
	v_mul_f32_e32 v129, 0x3fb8aa3b, v127
	v_cmp_ngt_f32_e32 vcc_lo, 0xc2ce8ed0, v127
	v_fma_f32 v132, 0x3fb8aa3b, v127, -v129
	v_rndne_f32_e32 v133, v129
	v_fmac_f32_e32 v132, 0x32a5705f, v127
	v_sub_f32_e32 v129, v129, v133
	v_add_f32_e32 v129, v129, v132
	v_cvt_i32_f32_e32 v132, v133
	v_exp_f32_e32 v129, v129
	v_ldexp_f32 v129, v129, v132
	v_cndmask_b32_e32 v129, 0, v129, vcc_lo
	v_cmp_nlt_f32_e32 vcc_lo, 0x42b17218, v127
	v_mul_f32_e32 v127, 0x3fb8aa3b, v31
	v_cndmask_b32_e32 v129, 0x7f800000, v129, vcc_lo
	v_fma_f32 v132, 0x3fb8aa3b, v31, -v127
	v_rndne_f32_e32 v133, v127
	v_cmp_ngt_f32_e32 vcc_lo, 0xc2ce8ed0, v31
	v_fmac_f32_e32 v132, 0x32a5705f, v31
	v_sub_f32_e32 v127, v127, v133
	v_add_f32_e32 v127, v127, v132
	v_cvt_i32_f32_e32 v132, v133
	v_exp_f32_e32 v127, v127
	v_ldexp_f32 v127, v127, v132
	v_cndmask_b32_e32 v127, 0, v127, vcc_lo
	v_cmp_nlt_f32_e32 vcc_lo, 0x42b17218, v31
	v_cndmask_b32_e32 v127, 0x7f800000, v127, vcc_lo
	v_cvt_f16_f32_e32 v31, v127
	v_fma_f32 v40, v40, v129, v127
	ds_write_b16 v33, v31
	v_cvt_f16_f32_e32 v31, v129
	v_mul_u32_u24_sdwa v31, v31, v126 dst_sel:DWORD dst_unused:UNUSED_PAD src0_sel:WORD_0 src1_sel:DWORD
	v_pk_mul_f16 v132, v11, v31
	ds_bpermute_b32 v11, v43, v131
	v_pk_mul_f16 v10, v10, v31
	s_waitcnt lgkmcnt(0)
	v_max_f32_e32 v11, v11, v11
	v_max_f32_e32 v11, v131, v11
	ds_bpermute_b32 v31, v44, v11
	s_waitcnt lgkmcnt(0)
	v_max_f32_e32 v31, v31, v31
	v_max_f32_e32 v11, v11, v31
	ds_bpermute_b32 v31, v45, v11
	s_waitcnt lgkmcnt(0)
	v_max_f32_e32 v31, v31, v31
	v_max_f32_e32 v11, v11, v31
	ds_bpermute_b32 v31, v46, v11
	s_waitcnt lgkmcnt(0)
	v_max_f32_e32 v31, v31, v31
	v_max_f32_e32 v31, v11, v31
	v_sub_f32_e32 v11, v128, v31
	v_mul_f32_e32 v128, 0x3fb8aa3b, v11
	v_cmp_ngt_f32_e32 vcc_lo, 0xc2ce8ed0, v11
	v_fma_f32 v129, 0x3fb8aa3b, v11, -v128
	v_rndne_f32_e32 v131, v128
	v_fmac_f32_e32 v129, 0x32a5705f, v11
	v_sub_f32_e32 v128, v128, v131
	v_add_f32_e32 v128, v128, v129
	v_cvt_i32_f32_e32 v129, v131
	v_exp_f32_e32 v128, v128
	v_ldexp_f32 v128, v128, v129
	v_cndmask_b32_e32 v128, 0, v128, vcc_lo
	v_cmp_nlt_f32_e32 vcc_lo, 0x42b17218, v11
	v_cndmask_b32_e32 v11, 0x7f800000, v128, vcc_lo
	v_sub_f32_e32 v128, v130, v31
	v_mul_f32_e32 v129, 0x3fb8aa3b, v128
	v_cmp_ngt_f32_e32 vcc_lo, 0xc2ce8ed0, v128
	v_fma_f32 v130, 0x3fb8aa3b, v128, -v129
	v_rndne_f32_e32 v131, v129
	v_fmac_f32_e32 v130, 0x32a5705f, v128
	v_sub_f32_e32 v129, v129, v131
	v_add_f32_e32 v129, v129, v130
	v_cvt_i32_f32_e32 v130, v131
	v_exp_f32_e32 v129, v129
	v_ldexp_f32 v129, v129, v130
	v_cndmask_b32_e32 v129, 0, v129, vcc_lo
	v_cmp_nlt_f32_e32 vcc_lo, 0x42b17218, v128
	v_cndmask_b32_e32 v128, 0x7f800000, v129, vcc_lo
	v_fma_f32 v41, v41, v11, v128
	v_cvt_f16_f32_e32 v11, v11
	v_cvt_f16_f32_e32 v128, v128
	v_mul_u32_u24_sdwa v11, v11, v126 dst_sel:DWORD dst_unused:UNUSED_PAD src0_sel:WORD_0 src1_sel:DWORD
	ds_write_b16 v33, v128 offset:256
	v_pk_mul_f16 v128, v12, v11
	v_pk_mul_f16 v134, v13, v11
	ds_read_u16 v12, v47
	ds_read_u16 v133, v47 offset:16
	ds_read_u16 v129, v47 offset:32
	;; [unrolled: 1-line block ×3, first 2 shown]
	s_waitcnt lgkmcnt(3)
	v_mul_u32_u24_e32 v135, 0x10001, v12
	ds_read_u16 v12, v47 offset:256
	s_waitcnt lgkmcnt(3)
	v_mul_u32_u24_e32 v133, 0x10001, v133
	s_waitcnt lgkmcnt(2)
	v_mul_u32_u24_e32 v129, 0x10001, v129
	;; [unrolled: 2-line block ×4, first 2 shown]
	v_add_co_u32 v12, vcc_lo, v119, s28
	v_add_co_ci_u32_e64 v13, null, 0, v120, vcc_lo
	v_add_co_u32 v130, vcc_lo, v117, s28
	v_add_co_ci_u32_e64 v131, null, 0, v118, vcc_lo
	global_load_ushort v12, v[12:13], off
	global_load_dword v130, v[130:131], off
	s_waitcnt vmcnt(1)
	v_mul_u32_u24_e32 v12, 0x10001, v12
	s_waitcnt vmcnt(0)
	v_ashrrev_i32_e32 v130, v125, v130
	v_and_b32_e32 v130, 0xf0f0f0f, v130
	v_lshrrev_b32_e32 v131, 16, v130
	v_and_b32_e32 v137, 0xf00, v131
	v_lshlrev_b16 v131, 8, v131
	v_add_nc_u16 v131, 0xf800, v131
	v_or_b32_sdwa v131, v137, v131 dst_sel:DWORD dst_unused:UNUSED_PAD src0_sel:DWORD src1_sel:BYTE_1
	v_and_b32_e32 v137, 0xf00, v130
	v_lshlrev_b16 v130, 8, v130
	v_add_nc_u16 v131, 0xf800, v131
	v_add_nc_u16 v130, 0xf800, v130
	v_or_b32_sdwa v130, v137, v130 dst_sel:DWORD dst_unused:UNUSED_PAD src0_sel:DWORD src1_sel:BYTE_1
	v_add_nc_u16 v130, 0xf800, v130
	v_lshrrev_b32_e32 v13, 8, v130
	v_cvt_f16_i16_sdwa v130, sext(v130) dst_sel:DWORD dst_unused:UNUSED_PAD src0_sel:BYTE_0
	v_cvt_f16_i16_sdwa v13, sext(v13) dst_sel:DWORD dst_unused:UNUSED_PAD src0_sel:BYTE_0
	v_pack_b32_f16 v13, v130, v13
	v_lshrrev_b32_e32 v130, 8, v131
	v_cvt_f16_i16_sdwa v131, sext(v131) dst_sel:DWORD dst_unused:UNUSED_PAD src0_sel:BYTE_0
	v_pk_mul_f16 v13, v13, v12
	v_cvt_f16_i16_sdwa v130, sext(v130) dst_sel:DWORD dst_unused:UNUSED_PAD src0_sel:BYTE_0
	v_pk_fma_f16 v139, v13, v135, v10
	v_pack_b32_f16 v130, v131, v130
	v_pk_fma_f16 v140, v13, v136, v128
	v_pk_mul_f16 v12, v130, v12
	v_pk_fma_f16 v141, v12, v135, v132
	v_pk_fma_f16 v142, v12, v136, v134
	ds_read_u16 v135, v48 offset:4
	ds_read_u16 v143, v48 offset:8
	;; [unrolled: 1-line block ×12, first 2 shown]
	s_waitcnt lgkmcnt(11)
	v_mul_u32_u24_e32 v146, 0x10001, v135
	ds_read_u16 v135, v48 offset:260
	s_waitcnt lgkmcnt(11)
	v_mul_u32_u24_e32 v143, 0x10001, v143
	s_waitcnt lgkmcnt(3)
	v_mul_u32_u24_e32 v13, 0x10001, v13
	;; [unrolled: 2-line block ×3, first 2 shown]
	v_add_co_u32 v135, vcc_lo, v115, s28
	v_add_co_ci_u32_e64 v136, null, 0, v116, vcc_lo
	v_add_co_u32 v137, vcc_lo, v113, s28
	v_add_co_ci_u32_e64 v138, null, 0, v114, vcc_lo
	global_load_ushort v135, v[135:136], off
	global_load_dword v137, v[137:138], off
	s_waitcnt vmcnt(1)
	v_mul_u32_u24_e32 v135, 0x10001, v135
	s_waitcnt vmcnt(0)
	v_ashrrev_i32_e32 v137, v125, v137
	v_and_b32_e32 v137, 0xf0f0f0f, v137
	v_lshrrev_b32_e32 v138, 16, v137
	v_and_b32_e32 v148, 0xf00, v138
	v_lshlrev_b16 v138, 8, v138
	v_add_nc_u16 v138, 0xf800, v138
	v_or_b32_sdwa v138, v148, v138 dst_sel:DWORD dst_unused:UNUSED_PAD src0_sel:DWORD src1_sel:BYTE_1
	v_and_b32_e32 v148, 0xf00, v137
	v_lshlrev_b16 v137, 8, v137
	v_add_nc_u16 v138, 0xf800, v138
	v_add_nc_u16 v137, 0xf800, v137
	v_or_b32_sdwa v137, v148, v137 dst_sel:DWORD dst_unused:UNUSED_PAD src0_sel:DWORD src1_sel:BYTE_1
	v_add_nc_u16 v137, 0xf800, v137
	v_lshrrev_b32_e32 v136, 8, v137
	v_cvt_f16_i16_sdwa v137, sext(v137) dst_sel:DWORD dst_unused:UNUSED_PAD src0_sel:BYTE_0
	v_cvt_f16_i16_sdwa v136, sext(v136) dst_sel:DWORD dst_unused:UNUSED_PAD src0_sel:BYTE_0
	v_pack_b32_f16 v136, v137, v136
	v_lshrrev_b32_e32 v137, 8, v138
	v_cvt_f16_i16_sdwa v138, sext(v138) dst_sel:DWORD dst_unused:UNUSED_PAD src0_sel:BYTE_0
	v_pk_mul_f16 v136, v136, v135
	v_cvt_f16_i16_sdwa v137, sext(v137) dst_sel:DWORD dst_unused:UNUSED_PAD src0_sel:BYTE_0
	v_pk_fma_f16 v139, v136, v146, v139
	v_pack_b32_f16 v137, v138, v137
	v_pk_fma_f16 v140, v136, v147, v140
	v_pk_mul_f16 v135, v137, v135
	v_pk_fma_f16 v141, v135, v146, v141
	v_pk_fma_f16 v142, v135, v147, v142
	ds_read_u16 v135, v48 offset:264
	s_waitcnt lgkmcnt(0)
	v_mul_u32_u24_e32 v146, 0x10001, v135
	v_add_co_u32 v135, vcc_lo, v111, s28
	v_add_co_ci_u32_e64 v136, null, 0, v112, vcc_lo
	v_add_co_u32 v137, vcc_lo, v109, s28
	v_add_co_ci_u32_e64 v138, null, 0, v110, vcc_lo
	global_load_ushort v135, v[135:136], off
	global_load_dword v137, v[137:138], off
	s_waitcnt vmcnt(1)
	v_mul_u32_u24_e32 v135, 0x10001, v135
	s_waitcnt vmcnt(0)
	v_ashrrev_i32_e32 v137, v125, v137
	v_and_b32_e32 v137, 0xf0f0f0f, v137
	v_lshrrev_b32_e32 v138, 16, v137
	v_and_b32_e32 v147, 0xf00, v138
	v_lshlrev_b16 v138, 8, v138
	v_add_nc_u16 v138, 0xf800, v138
	v_or_b32_sdwa v138, v147, v138 dst_sel:DWORD dst_unused:UNUSED_PAD src0_sel:DWORD src1_sel:BYTE_1
	v_and_b32_e32 v147, 0xf00, v137
	v_lshlrev_b16 v137, 8, v137
	v_add_nc_u16 v138, 0xf800, v138
	v_add_nc_u16 v137, 0xf800, v137
	v_or_b32_sdwa v137, v147, v137 dst_sel:DWORD dst_unused:UNUSED_PAD src0_sel:DWORD src1_sel:BYTE_1
	v_add_nc_u16 v137, 0xf800, v137
	v_lshrrev_b32_e32 v136, 8, v137
	v_cvt_f16_i16_sdwa v137, sext(v137) dst_sel:DWORD dst_unused:UNUSED_PAD src0_sel:BYTE_0
	v_cvt_f16_i16_sdwa v136, sext(v136) dst_sel:DWORD dst_unused:UNUSED_PAD src0_sel:BYTE_0
	v_pack_b32_f16 v136, v137, v136
	v_lshrrev_b32_e32 v137, 8, v138
	v_cvt_f16_i16_sdwa v138, sext(v138) dst_sel:DWORD dst_unused:UNUSED_PAD src0_sel:BYTE_0
	v_pk_mul_f16 v136, v136, v135
	v_cvt_f16_i16_sdwa v137, sext(v137) dst_sel:DWORD dst_unused:UNUSED_PAD src0_sel:BYTE_0
	v_pk_fma_f16 v139, v136, v143, v139
	v_pack_b32_f16 v137, v138, v137
	v_pk_fma_f16 v140, v136, v146, v140
	v_pk_mul_f16 v135, v137, v135
	v_pk_fma_f16 v141, v135, v143, v141
	v_pk_fma_f16 v142, v135, v146, v142
	ds_read_u16 v135, v48 offset:268
	v_mul_u32_u24_e32 v143, 0x10001, v144
	s_waitcnt lgkmcnt(0)
	v_mul_u32_u24_e32 v144, 0x10001, v135
	v_add_co_u32 v135, vcc_lo, v107, s28
	v_add_co_ci_u32_e64 v136, null, 0, v108, vcc_lo
	v_add_co_u32 v137, vcc_lo, v105, s28
	v_add_co_ci_u32_e64 v138, null, 0, v106, vcc_lo
	global_load_ushort v135, v[135:136], off
	global_load_dword v137, v[137:138], off
	s_waitcnt vmcnt(1)
	v_mul_u32_u24_e32 v135, 0x10001, v135
	s_waitcnt vmcnt(0)
	v_ashrrev_i32_e32 v137, v125, v137
	v_and_b32_e32 v137, 0xf0f0f0f, v137
	v_lshrrev_b32_e32 v138, 16, v137
	v_and_b32_e32 v146, 0xf00, v138
	v_lshlrev_b16 v138, 8, v138
	v_add_nc_u16 v138, 0xf800, v138
	v_or_b32_sdwa v138, v146, v138 dst_sel:DWORD dst_unused:UNUSED_PAD src0_sel:DWORD src1_sel:BYTE_1
	v_and_b32_e32 v146, 0xf00, v137
	v_lshlrev_b16 v137, 8, v137
	v_add_nc_u16 v138, 0xf800, v138
	v_add_nc_u16 v137, 0xf800, v137
	v_or_b32_sdwa v137, v146, v137 dst_sel:DWORD dst_unused:UNUSED_PAD src0_sel:DWORD src1_sel:BYTE_1
	v_add_nc_u16 v137, 0xf800, v137
	v_lshrrev_b32_e32 v136, 8, v137
	v_cvt_f16_i16_sdwa v137, sext(v137) dst_sel:DWORD dst_unused:UNUSED_PAD src0_sel:BYTE_0
	v_cvt_f16_i16_sdwa v136, sext(v136) dst_sel:DWORD dst_unused:UNUSED_PAD src0_sel:BYTE_0
	v_pack_b32_f16 v136, v137, v136
	v_lshrrev_b32_e32 v137, 8, v138
	v_cvt_f16_i16_sdwa v138, sext(v138) dst_sel:DWORD dst_unused:UNUSED_PAD src0_sel:BYTE_0
	v_pk_mul_f16 v136, v136, v135
	v_cvt_f16_i16_sdwa v137, sext(v137) dst_sel:DWORD dst_unused:UNUSED_PAD src0_sel:BYTE_0
	v_pk_fma_f16 v139, v136, v143, v139
	v_pack_b32_f16 v137, v138, v137
	v_pk_fma_f16 v140, v136, v144, v140
	v_pk_mul_f16 v135, v137, v135
	v_pk_fma_f16 v141, v135, v143, v141
	v_pk_fma_f16 v142, v135, v144, v142
	ds_read_u16 v135, v47 offset:272
	s_waitcnt lgkmcnt(0)
	v_mul_u32_u24_e32 v143, 0x10001, v135
	v_add_co_u32 v135, vcc_lo, v103, s28
	v_add_co_ci_u32_e64 v136, null, 0, v104, vcc_lo
	v_add_co_u32 v137, vcc_lo, v101, s28
	v_add_co_ci_u32_e64 v138, null, 0, v102, vcc_lo
	global_load_ushort v135, v[135:136], off
	global_load_dword v137, v[137:138], off
	s_waitcnt vmcnt(1)
	v_mul_u32_u24_e32 v135, 0x10001, v135
	s_waitcnt vmcnt(0)
	v_ashrrev_i32_e32 v137, v125, v137
	v_and_b32_e32 v137, 0xf0f0f0f, v137
	v_lshrrev_b32_e32 v138, 16, v137
	v_and_b32_e32 v144, 0xf00, v138
	v_lshlrev_b16 v138, 8, v138
	v_add_nc_u16 v138, 0xf800, v138
	v_or_b32_sdwa v138, v144, v138 dst_sel:DWORD dst_unused:UNUSED_PAD src0_sel:DWORD src1_sel:BYTE_1
	v_and_b32_e32 v144, 0xf00, v137
	v_lshlrev_b16 v137, 8, v137
	v_add_nc_u16 v138, 0xf800, v138
	v_add_nc_u16 v137, 0xf800, v137
	v_or_b32_sdwa v137, v144, v137 dst_sel:DWORD dst_unused:UNUSED_PAD src0_sel:DWORD src1_sel:BYTE_1
	v_add_nc_u16 v137, 0xf800, v137
	v_lshrrev_b32_e32 v136, 8, v137
	v_cvt_f16_i16_sdwa v137, sext(v137) dst_sel:DWORD dst_unused:UNUSED_PAD src0_sel:BYTE_0
	v_cvt_f16_i16_sdwa v136, sext(v136) dst_sel:DWORD dst_unused:UNUSED_PAD src0_sel:BYTE_0
	v_pack_b32_f16 v136, v137, v136
	v_lshrrev_b32_e32 v137, 8, v138
	v_cvt_f16_i16_sdwa v138, sext(v138) dst_sel:DWORD dst_unused:UNUSED_PAD src0_sel:BYTE_0
	v_pk_mul_f16 v136, v136, v135
	v_cvt_f16_i16_sdwa v137, sext(v137) dst_sel:DWORD dst_unused:UNUSED_PAD src0_sel:BYTE_0
	v_pk_fma_f16 v139, v136, v133, v139
	v_pack_b32_f16 v137, v138, v137
	v_pk_fma_f16 v140, v136, v143, v140
	v_pk_mul_f16 v135, v137, v135
	v_pk_fma_f16 v133, v135, v133, v141
	v_pk_fma_f16 v141, v135, v143, v142
	ds_read_u16 v135, v48 offset:276
	v_mul_u32_u24_e32 v142, 0x10001, v145
	s_waitcnt lgkmcnt(0)
	v_mul_u32_u24_e32 v143, 0x10001, v135
	v_add_co_u32 v135, vcc_lo, v99, s28
	v_add_co_ci_u32_e64 v136, null, 0, v100, vcc_lo
	v_add_co_u32 v137, vcc_lo, v97, s28
	v_add_co_ci_u32_e64 v138, null, 0, v98, vcc_lo
	global_load_ushort v135, v[135:136], off
	global_load_dword v137, v[137:138], off
	s_waitcnt vmcnt(1)
	v_mul_u32_u24_e32 v135, 0x10001, v135
	s_waitcnt vmcnt(0)
	v_ashrrev_i32_e32 v137, v125, v137
	v_and_b32_e32 v137, 0xf0f0f0f, v137
	v_lshrrev_b32_e32 v138, 16, v137
	v_and_b32_e32 v144, 0xf00, v138
	v_lshlrev_b16 v138, 8, v138
	v_add_nc_u16 v138, 0xf800, v138
	v_or_b32_sdwa v138, v144, v138 dst_sel:DWORD dst_unused:UNUSED_PAD src0_sel:DWORD src1_sel:BYTE_1
	v_and_b32_e32 v144, 0xf00, v137
	v_lshlrev_b16 v137, 8, v137
	v_add_nc_u16 v138, 0xf800, v138
	v_add_nc_u16 v137, 0xf800, v137
	v_or_b32_sdwa v137, v144, v137 dst_sel:DWORD dst_unused:UNUSED_PAD src0_sel:DWORD src1_sel:BYTE_1
	v_add_nc_u16 v137, 0xf800, v137
	v_lshrrev_b32_e32 v136, 8, v137
	v_cvt_f16_i16_sdwa v137, sext(v137) dst_sel:DWORD dst_unused:UNUSED_PAD src0_sel:BYTE_0
	v_cvt_f16_i16_sdwa v136, sext(v136) dst_sel:DWORD dst_unused:UNUSED_PAD src0_sel:BYTE_0
	v_pack_b32_f16 v136, v137, v136
	v_lshrrev_b32_e32 v137, 8, v138
	v_cvt_f16_i16_sdwa v138, sext(v138) dst_sel:DWORD dst_unused:UNUSED_PAD src0_sel:BYTE_0
	v_pk_mul_f16 v136, v136, v135
	v_cvt_f16_i16_sdwa v137, sext(v137) dst_sel:DWORD dst_unused:UNUSED_PAD src0_sel:BYTE_0
	v_pack_b32_f16 v137, v138, v137
	v_pk_fma_f16 v138, v136, v143, v140
	v_pk_mul_f16 v135, v137, v135
	v_pk_fma_f16 v137, v136, v142, v139
	v_pk_fma_f16 v139, v135, v142, v133
	ds_read_u16 v133, v48 offset:280
	v_pk_fma_f16 v140, v135, v143, v141
	v_mul_u32_u24_e32 v141, 0x10001, v134
	s_waitcnt lgkmcnt(0)
	v_mul_u32_u24_e32 v142, 0x10001, v133
	v_add_co_u32 v133, vcc_lo, v95, s28
	v_add_co_ci_u32_e64 v134, null, 0, v96, vcc_lo
	v_add_co_u32 v135, vcc_lo, v93, s28
	v_add_co_ci_u32_e64 v136, null, 0, v94, vcc_lo
	global_load_ushort v133, v[133:134], off
	global_load_dword v135, v[135:136], off
	s_waitcnt vmcnt(1)
	v_mul_u32_u24_e32 v133, 0x10001, v133
	s_waitcnt vmcnt(0)
	v_ashrrev_i32_e32 v135, v125, v135
	v_and_b32_e32 v135, 0xf0f0f0f, v135
	v_lshrrev_b32_e32 v136, 16, v135
	v_and_b32_e32 v143, 0xf00, v136
	v_lshlrev_b16 v136, 8, v136
	v_add_nc_u16 v136, 0xf800, v136
	v_or_b32_sdwa v136, v143, v136 dst_sel:DWORD dst_unused:UNUSED_PAD src0_sel:DWORD src1_sel:BYTE_1
	v_and_b32_e32 v143, 0xf00, v135
	v_lshlrev_b16 v135, 8, v135
	v_add_nc_u16 v136, 0xf800, v136
	v_add_nc_u16 v135, 0xf800, v135
	v_or_b32_sdwa v135, v143, v135 dst_sel:DWORD dst_unused:UNUSED_PAD src0_sel:DWORD src1_sel:BYTE_1
	v_add_nc_u16 v135, 0xf800, v135
	v_lshrrev_b32_e32 v134, 8, v135
	v_cvt_f16_i16_sdwa v135, sext(v135) dst_sel:DWORD dst_unused:UNUSED_PAD src0_sel:BYTE_0
	v_cvt_f16_i16_sdwa v134, sext(v134) dst_sel:DWORD dst_unused:UNUSED_PAD src0_sel:BYTE_0
	v_pack_b32_f16 v134, v135, v134
	v_lshrrev_b32_e32 v135, 8, v136
	v_cvt_f16_i16_sdwa v136, sext(v136) dst_sel:DWORD dst_unused:UNUSED_PAD src0_sel:BYTE_0
	v_pk_mul_f16 v134, v134, v133
	v_cvt_f16_i16_sdwa v135, sext(v135) dst_sel:DWORD dst_unused:UNUSED_PAD src0_sel:BYTE_0
	v_pack_b32_f16 v135, v136, v135
	v_pk_fma_f16 v136, v134, v141, v137
	v_pk_fma_f16 v137, v134, v142, v138
	v_pk_mul_f16 v133, v135, v133
	v_pk_fma_f16 v138, v133, v141, v139
	v_pk_fma_f16 v139, v133, v142, v140
	v_mul_u32_u24_e32 v140, 0x10001, v132
	ds_read_u16 v132, v48 offset:284
	s_waitcnt lgkmcnt(0)
	v_mul_u32_u24_e32 v141, 0x10001, v132
	v_add_co_u32 v132, vcc_lo, v91, s28
	v_add_co_ci_u32_e64 v133, null, 0, v92, vcc_lo
	v_add_co_u32 v134, vcc_lo, v89, s28
	v_add_co_ci_u32_e64 v135, null, 0, v90, vcc_lo
	global_load_ushort v132, v[132:133], off
	global_load_dword v134, v[134:135], off
	s_waitcnt vmcnt(1)
	v_mul_u32_u24_e32 v132, 0x10001, v132
	s_waitcnt vmcnt(0)
	v_ashrrev_i32_e32 v134, v125, v134
	v_and_b32_e32 v134, 0xf0f0f0f, v134
	v_lshrrev_b32_e32 v135, 16, v134
	v_and_b32_e32 v142, 0xf00, v135
	v_lshlrev_b16 v135, 8, v135
	v_add_nc_u16 v135, 0xf800, v135
	v_or_b32_sdwa v135, v142, v135 dst_sel:DWORD dst_unused:UNUSED_PAD src0_sel:DWORD src1_sel:BYTE_1
	v_and_b32_e32 v142, 0xf00, v134
	v_lshlrev_b16 v134, 8, v134
	v_add_nc_u16 v135, 0xf800, v135
	v_add_nc_u16 v134, 0xf800, v134
	v_or_b32_sdwa v134, v142, v134 dst_sel:DWORD dst_unused:UNUSED_PAD src0_sel:DWORD src1_sel:BYTE_1
	v_add_nc_u16 v134, 0xf800, v134
	v_lshrrev_b32_e32 v133, 8, v134
	v_cvt_f16_i16_sdwa v134, sext(v134) dst_sel:DWORD dst_unused:UNUSED_PAD src0_sel:BYTE_0
	v_cvt_f16_i16_sdwa v133, sext(v133) dst_sel:DWORD dst_unused:UNUSED_PAD src0_sel:BYTE_0
	v_pack_b32_f16 v133, v134, v133
	v_lshrrev_b32_e32 v134, 8, v135
	v_cvt_f16_i16_sdwa v135, sext(v135) dst_sel:DWORD dst_unused:UNUSED_PAD src0_sel:BYTE_0
	v_pk_mul_f16 v133, v133, v132
	v_cvt_f16_i16_sdwa v134, sext(v134) dst_sel:DWORD dst_unused:UNUSED_PAD src0_sel:BYTE_0
	v_pk_fma_f16 v136, v133, v140, v136
	v_pack_b32_f16 v134, v135, v134
	v_pk_fma_f16 v137, v133, v141, v137
	v_pk_mul_f16 v132, v134, v132
	v_pk_fma_f16 v138, v132, v140, v138
	v_pk_fma_f16 v139, v132, v141, v139
	ds_read_u16 v132, v47 offset:288
	s_waitcnt lgkmcnt(0)
	v_mul_u32_u24_e32 v140, 0x10001, v132
	v_add_co_u32 v132, vcc_lo, v87, s28
	v_add_co_ci_u32_e64 v133, null, 0, v88, vcc_lo
	v_add_co_u32 v134, vcc_lo, v85, s28
	v_add_co_ci_u32_e64 v135, null, 0, v86, vcc_lo
	global_load_ushort v132, v[132:133], off
	global_load_dword v134, v[134:135], off
	s_waitcnt vmcnt(1)
	v_mul_u32_u24_e32 v132, 0x10001, v132
	s_waitcnt vmcnt(0)
	v_ashrrev_i32_e32 v134, v125, v134
	v_and_b32_e32 v134, 0xf0f0f0f, v134
	v_lshrrev_b32_e32 v135, 16, v134
	v_and_b32_e32 v141, 0xf00, v135
	v_lshlrev_b16 v135, 8, v135
	v_add_nc_u16 v135, 0xf800, v135
	v_or_b32_sdwa v135, v141, v135 dst_sel:DWORD dst_unused:UNUSED_PAD src0_sel:DWORD src1_sel:BYTE_1
	v_and_b32_e32 v141, 0xf00, v134
	v_lshlrev_b16 v134, 8, v134
	v_add_nc_u16 v135, 0xf800, v135
	v_add_nc_u16 v134, 0xf800, v134
	v_or_b32_sdwa v134, v141, v134 dst_sel:DWORD dst_unused:UNUSED_PAD src0_sel:DWORD src1_sel:BYTE_1
	v_add_nc_u16 v134, 0xf800, v134
	v_lshrrev_b32_e32 v133, 8, v134
	v_cvt_f16_i16_sdwa v134, sext(v134) dst_sel:DWORD dst_unused:UNUSED_PAD src0_sel:BYTE_0
	v_cvt_f16_i16_sdwa v133, sext(v133) dst_sel:DWORD dst_unused:UNUSED_PAD src0_sel:BYTE_0
	v_pack_b32_f16 v133, v134, v133
	v_lshrrev_b32_e32 v134, 8, v135
	v_cvt_f16_i16_sdwa v135, sext(v135) dst_sel:DWORD dst_unused:UNUSED_PAD src0_sel:BYTE_0
	v_pk_mul_f16 v133, v133, v132
	v_cvt_f16_i16_sdwa v134, sext(v134) dst_sel:DWORD dst_unused:UNUSED_PAD src0_sel:BYTE_0
	v_pack_b32_f16 v134, v135, v134
	v_pk_fma_f16 v135, v133, v129, v136
	v_pk_fma_f16 v136, v133, v140, v137
	v_pk_mul_f16 v132, v134, v132
	v_pk_fma_f16 v129, v132, v129, v138
	v_mul_u32_u24_e32 v138, 0x10001, v131
	ds_read_u16 v131, v48 offset:292
	v_pk_fma_f16 v137, v132, v140, v139
	s_waitcnt lgkmcnt(0)
	v_mul_u32_u24_e32 v139, 0x10001, v131
	v_add_co_u32 v131, vcc_lo, v83, s28
	v_add_co_ci_u32_e64 v132, null, 0, v84, vcc_lo
	v_add_co_u32 v133, vcc_lo, v81, s28
	v_add_co_ci_u32_e64 v134, null, 0, v82, vcc_lo
	global_load_ushort v131, v[131:132], off
	global_load_dword v133, v[133:134], off
	s_waitcnt vmcnt(1)
	v_mul_u32_u24_e32 v131, 0x10001, v131
	s_waitcnt vmcnt(0)
	v_ashrrev_i32_e32 v133, v125, v133
	v_and_b32_e32 v133, 0xf0f0f0f, v133
	v_lshrrev_b32_e32 v134, 16, v133
	v_and_b32_e32 v140, 0xf00, v134
	v_lshlrev_b16 v134, 8, v134
	v_add_nc_u16 v134, 0xf800, v134
	v_or_b32_sdwa v134, v140, v134 dst_sel:DWORD dst_unused:UNUSED_PAD src0_sel:DWORD src1_sel:BYTE_1
	v_and_b32_e32 v140, 0xf00, v133
	v_lshlrev_b16 v133, 8, v133
	v_add_nc_u16 v134, 0xf800, v134
	v_add_nc_u16 v133, 0xf800, v133
	v_or_b32_sdwa v133, v140, v133 dst_sel:DWORD dst_unused:UNUSED_PAD src0_sel:DWORD src1_sel:BYTE_1
	v_add_nc_u16 v133, 0xf800, v133
	v_lshrrev_b32_e32 v132, 8, v133
	v_cvt_f16_i16_sdwa v133, sext(v133) dst_sel:DWORD dst_unused:UNUSED_PAD src0_sel:BYTE_0
	v_cvt_f16_i16_sdwa v132, sext(v132) dst_sel:DWORD dst_unused:UNUSED_PAD src0_sel:BYTE_0
	v_pack_b32_f16 v132, v133, v132
	v_lshrrev_b32_e32 v133, 8, v134
	v_cvt_f16_i16_sdwa v134, sext(v134) dst_sel:DWORD dst_unused:UNUSED_PAD src0_sel:BYTE_0
	v_pk_mul_f16 v132, v132, v131
	v_cvt_f16_i16_sdwa v133, sext(v133) dst_sel:DWORD dst_unused:UNUSED_PAD src0_sel:BYTE_0
	v_pack_b32_f16 v133, v134, v133
	v_pk_fma_f16 v134, v132, v139, v136
	v_pk_mul_f16 v131, v133, v131
	v_pk_fma_f16 v133, v132, v138, v135
	v_pk_fma_f16 v135, v131, v138, v129
	ds_read_u16 v129, v48 offset:296
	v_pk_fma_f16 v136, v131, v139, v137
	v_mul_u32_u24_e32 v137, 0x10001, v130
	s_waitcnt lgkmcnt(0)
	v_mul_u32_u24_e32 v138, 0x10001, v129
	v_add_co_u32 v129, vcc_lo, v79, s28
	v_add_co_ci_u32_e64 v130, null, 0, v80, vcc_lo
	v_add_co_u32 v131, vcc_lo, v77, s28
	v_add_co_ci_u32_e64 v132, null, 0, v78, vcc_lo
	global_load_ushort v129, v[129:130], off
	global_load_dword v131, v[131:132], off
	s_waitcnt vmcnt(1)
	v_mul_u32_u24_e32 v129, 0x10001, v129
	s_waitcnt vmcnt(0)
	v_ashrrev_i32_e32 v131, v125, v131
	v_and_b32_e32 v131, 0xf0f0f0f, v131
	v_lshrrev_b32_e32 v132, 16, v131
	v_and_b32_e32 v139, 0xf00, v132
	v_lshlrev_b16 v132, 8, v132
	v_add_nc_u16 v132, 0xf800, v132
	v_or_b32_sdwa v132, v139, v132 dst_sel:DWORD dst_unused:UNUSED_PAD src0_sel:DWORD src1_sel:BYTE_1
	v_and_b32_e32 v139, 0xf00, v131
	v_lshlrev_b16 v131, 8, v131
	v_add_nc_u16 v132, 0xf800, v132
	v_add_nc_u16 v131, 0xf800, v131
	v_or_b32_sdwa v131, v139, v131 dst_sel:DWORD dst_unused:UNUSED_PAD src0_sel:DWORD src1_sel:BYTE_1
	v_add_nc_u16 v131, 0xf800, v131
	v_lshrrev_b32_e32 v130, 8, v131
	v_cvt_f16_i16_sdwa v131, sext(v131) dst_sel:DWORD dst_unused:UNUSED_PAD src0_sel:BYTE_0
	v_cvt_f16_i16_sdwa v130, sext(v130) dst_sel:DWORD dst_unused:UNUSED_PAD src0_sel:BYTE_0
	v_pack_b32_f16 v130, v131, v130
	v_lshrrev_b32_e32 v131, 8, v132
	v_cvt_f16_i16_sdwa v132, sext(v132) dst_sel:DWORD dst_unused:UNUSED_PAD src0_sel:BYTE_0
	v_pk_mul_f16 v130, v130, v129
	v_cvt_f16_i16_sdwa v131, sext(v131) dst_sel:DWORD dst_unused:UNUSED_PAD src0_sel:BYTE_0
	v_pack_b32_f16 v131, v132, v131
	v_pk_fma_f16 v132, v130, v137, v133
	v_pk_fma_f16 v133, v130, v138, v134
	v_pk_mul_f16 v129, v131, v129
	v_pk_fma_f16 v134, v129, v137, v135
	v_pk_fma_f16 v135, v129, v138, v136
	v_mul_u32_u24_e32 v136, 0x10001, v128
	ds_read_u16 v128, v48 offset:300
	s_waitcnt lgkmcnt(0)
	v_mul_u32_u24_e32 v137, 0x10001, v128
	v_add_co_u32 v128, vcc_lo, v75, s28
	v_add_co_ci_u32_e64 v129, null, 0, v76, vcc_lo
	v_add_co_u32 v130, vcc_lo, v73, s28
	v_add_co_ci_u32_e64 v131, null, 0, v74, vcc_lo
	global_load_ushort v128, v[128:129], off
	global_load_dword v130, v[130:131], off
	s_waitcnt vmcnt(1)
	v_mul_u32_u24_e32 v128, 0x10001, v128
	s_waitcnt vmcnt(0)
	v_ashrrev_i32_e32 v130, v125, v130
	v_and_b32_e32 v130, 0xf0f0f0f, v130
	v_lshrrev_b32_e32 v131, 16, v130
	v_and_b32_e32 v138, 0xf00, v131
	v_lshlrev_b16 v131, 8, v131
	v_add_nc_u16 v131, 0xf800, v131
	v_or_b32_sdwa v131, v138, v131 dst_sel:DWORD dst_unused:UNUSED_PAD src0_sel:DWORD src1_sel:BYTE_1
	v_and_b32_e32 v138, 0xf00, v130
	v_lshlrev_b16 v130, 8, v130
	v_add_nc_u16 v131, 0xf800, v131
	v_add_nc_u16 v130, 0xf800, v130
	v_or_b32_sdwa v130, v138, v130 dst_sel:DWORD dst_unused:UNUSED_PAD src0_sel:DWORD src1_sel:BYTE_1
	v_add_nc_u16 v130, 0xf800, v130
	v_lshrrev_b32_e32 v129, 8, v130
	v_cvt_f16_i16_sdwa v130, sext(v130) dst_sel:DWORD dst_unused:UNUSED_PAD src0_sel:BYTE_0
	v_cvt_f16_i16_sdwa v129, sext(v129) dst_sel:DWORD dst_unused:UNUSED_PAD src0_sel:BYTE_0
	v_pack_b32_f16 v129, v130, v129
	v_lshrrev_b32_e32 v130, 8, v131
	v_cvt_f16_i16_sdwa v131, sext(v131) dst_sel:DWORD dst_unused:UNUSED_PAD src0_sel:BYTE_0
	v_pk_mul_f16 v129, v129, v128
	v_cvt_f16_i16_sdwa v130, sext(v130) dst_sel:DWORD dst_unused:UNUSED_PAD src0_sel:BYTE_0
	v_pk_fma_f16 v132, v129, v136, v132
	v_pack_b32_f16 v130, v131, v130
	v_pk_fma_f16 v133, v129, v137, v133
	v_pk_mul_f16 v128, v130, v128
	v_pk_fma_f16 v134, v128, v136, v134
	v_pk_fma_f16 v135, v128, v137, v135
	ds_read_u16 v128, v47 offset:304
	s_waitcnt lgkmcnt(0)
	v_mul_u32_u24_e32 v136, 0x10001, v128
	v_add_co_u32 v128, vcc_lo, v71, s28
	v_add_co_ci_u32_e64 v129, null, 0, v72, vcc_lo
	v_add_co_u32 v130, vcc_lo, v69, s28
	v_add_co_ci_u32_e64 v131, null, 0, v70, vcc_lo
	global_load_ushort v128, v[128:129], off
	global_load_dword v130, v[130:131], off
	s_waitcnt vmcnt(1)
	v_mul_u32_u24_e32 v128, 0x10001, v128
	s_waitcnt vmcnt(0)
	v_ashrrev_i32_e32 v130, v125, v130
	v_and_b32_e32 v130, 0xf0f0f0f, v130
	v_lshrrev_b32_e32 v131, 16, v130
	v_and_b32_e32 v137, 0xf00, v131
	v_lshlrev_b16 v131, 8, v131
	v_add_nc_u16 v131, 0xf800, v131
	v_or_b32_sdwa v131, v137, v131 dst_sel:DWORD dst_unused:UNUSED_PAD src0_sel:DWORD src1_sel:BYTE_1
	v_and_b32_e32 v137, 0xf00, v130
	v_lshlrev_b16 v130, 8, v130
	v_add_nc_u16 v131, 0xf800, v131
	v_add_nc_u16 v130, 0xf800, v130
	v_or_b32_sdwa v130, v137, v130 dst_sel:DWORD dst_unused:UNUSED_PAD src0_sel:DWORD src1_sel:BYTE_1
	v_add_nc_u16 v130, 0xf800, v130
	v_lshrrev_b32_e32 v129, 8, v130
	v_cvt_f16_i16_sdwa v130, sext(v130) dst_sel:DWORD dst_unused:UNUSED_PAD src0_sel:BYTE_0
	v_cvt_f16_i16_sdwa v129, sext(v129) dst_sel:DWORD dst_unused:UNUSED_PAD src0_sel:BYTE_0
	v_pack_b32_f16 v129, v130, v129
	v_lshrrev_b32_e32 v130, 8, v131
	v_cvt_f16_i16_sdwa v131, sext(v131) dst_sel:DWORD dst_unused:UNUSED_PAD src0_sel:BYTE_0
	v_pk_mul_f16 v129, v129, v128
	v_cvt_f16_i16_sdwa v130, sext(v130) dst_sel:DWORD dst_unused:UNUSED_PAD src0_sel:BYTE_0
	v_pk_fma_f16 v132, v129, v11, v132
	v_pack_b32_f16 v130, v131, v130
	v_pk_fma_f16 v133, v129, v136, v133
	v_pk_mul_f16 v128, v130, v128
	v_pk_fma_f16 v11, v128, v11, v134
	v_pk_fma_f16 v134, v128, v136, v135
	ds_read_u16 v128, v48 offset:308
	s_waitcnt lgkmcnt(0)
	v_mul_u32_u24_e32 v135, 0x10001, v128
	v_add_co_u32 v128, vcc_lo, v67, s28
	v_add_co_ci_u32_e64 v129, null, 0, v68, vcc_lo
	v_add_co_u32 v130, vcc_lo, v65, s28
	v_add_co_ci_u32_e64 v131, null, 0, v66, vcc_lo
	global_load_ushort v128, v[128:129], off
	global_load_dword v130, v[130:131], off
	s_waitcnt vmcnt(1)
	v_mul_u32_u24_e32 v128, 0x10001, v128
	s_waitcnt vmcnt(0)
	v_ashrrev_i32_e32 v130, v125, v130
	v_and_b32_e32 v130, 0xf0f0f0f, v130
	v_lshrrev_b32_e32 v131, 16, v130
	v_and_b32_e32 v136, 0xf00, v131
	v_lshlrev_b16 v131, 8, v131
	v_add_nc_u16 v131, 0xf800, v131
	v_or_b32_sdwa v131, v136, v131 dst_sel:DWORD dst_unused:UNUSED_PAD src0_sel:DWORD src1_sel:BYTE_1
	v_and_b32_e32 v136, 0xf00, v130
	v_lshlrev_b16 v130, 8, v130
	v_add_nc_u16 v131, 0xf800, v131
	v_add_nc_u16 v130, 0xf800, v130
	v_or_b32_sdwa v130, v136, v130 dst_sel:DWORD dst_unused:UNUSED_PAD src0_sel:DWORD src1_sel:BYTE_1
	v_add_nc_u16 v130, 0xf800, v130
	v_lshrrev_b32_e32 v129, 8, v130
	v_cvt_f16_i16_sdwa v130, sext(v130) dst_sel:DWORD dst_unused:UNUSED_PAD src0_sel:BYTE_0
	v_cvt_f16_i16_sdwa v129, sext(v129) dst_sel:DWORD dst_unused:UNUSED_PAD src0_sel:BYTE_0
	v_pack_b32_f16 v129, v130, v129
	v_lshrrev_b32_e32 v130, 8, v131
	v_cvt_f16_i16_sdwa v131, sext(v131) dst_sel:DWORD dst_unused:UNUSED_PAD src0_sel:BYTE_0
	v_pk_mul_f16 v129, v129, v128
	v_cvt_f16_i16_sdwa v130, sext(v130) dst_sel:DWORD dst_unused:UNUSED_PAD src0_sel:BYTE_0
	v_pack_b32_f16 v130, v131, v130
	v_pk_fma_f16 v131, v129, v135, v133
	v_mul_u32_u24_e32 v133, 0x10001, v12
	v_pk_mul_f16 v128, v130, v128
	v_pk_fma_f16 v130, v129, v13, v132
	v_pk_fma_f16 v13, v128, v13, v11
	ds_read_u16 v11, v48 offset:312
	v_pk_fma_f16 v132, v128, v135, v134
	s_waitcnt lgkmcnt(0)
	v_mul_u32_u24_e32 v134, 0x10001, v11
	v_add_co_u32 v11, vcc_lo, v63, s28
	v_add_co_ci_u32_e64 v12, null, 0, v64, vcc_lo
	v_add_co_u32 v128, vcc_lo, v61, s28
	v_add_co_ci_u32_e64 v129, null, 0, v62, vcc_lo
	global_load_ushort v11, v[11:12], off
	global_load_dword v128, v[128:129], off
	s_waitcnt vmcnt(1)
	v_mul_u32_u24_e32 v11, 0x10001, v11
	s_waitcnt vmcnt(0)
	v_ashrrev_i32_e32 v128, v125, v128
	v_and_b32_e32 v128, 0xf0f0f0f, v128
	v_lshrrev_b32_e32 v129, 16, v128
	v_and_b32_e32 v135, 0xf00, v129
	v_lshlrev_b16 v129, 8, v129
	v_add_nc_u16 v129, 0xf800, v129
	v_or_b32_sdwa v129, v135, v129 dst_sel:DWORD dst_unused:UNUSED_PAD src0_sel:DWORD src1_sel:BYTE_1
	v_and_b32_e32 v135, 0xf00, v128
	v_lshlrev_b16 v128, 8, v128
	v_add_nc_u16 v129, 0xf800, v129
	v_add_nc_u16 v128, 0xf800, v128
	v_or_b32_sdwa v128, v135, v128 dst_sel:DWORD dst_unused:UNUSED_PAD src0_sel:DWORD src1_sel:BYTE_1
	v_add_nc_u16 v128, 0xf800, v128
	v_lshrrev_b32_e32 v12, 8, v128
	v_cvt_f16_i16_sdwa v128, sext(v128) dst_sel:DWORD dst_unused:UNUSED_PAD src0_sel:BYTE_0
	v_cvt_f16_i16_sdwa v12, sext(v12) dst_sel:DWORD dst_unused:UNUSED_PAD src0_sel:BYTE_0
	v_pack_b32_f16 v12, v128, v12
	v_lshrrev_b32_e32 v128, 8, v129
	v_cvt_f16_i16_sdwa v129, sext(v129) dst_sel:DWORD dst_unused:UNUSED_PAD src0_sel:BYTE_0
	v_pk_mul_f16 v12, v12, v11
	v_cvt_f16_i16_sdwa v128, sext(v128) dst_sel:DWORD dst_unused:UNUSED_PAD src0_sel:BYTE_0
	v_pack_b32_f16 v128, v129, v128
	v_mul_u32_u24_e32 v129, 0x10001, v10
	ds_read_u16 v10, v48 offset:316
	v_pk_mul_f16 v128, v128, v11
	v_pk_fma_f16 v11, v12, v133, v130
	v_pk_fma_f16 v12, v12, v134, v131
	;; [unrolled: 1-line block ×4, first 2 shown]
	v_add_co_u32 v132, vcc_lo, v59, s28
	v_add_co_ci_u32_e64 v133, null, 0, v60, vcc_lo
	v_add_co_u32 v134, vcc_lo, v57, s28
	v_add_co_ci_u32_e64 v135, null, 0, v58, vcc_lo
	global_load_ushort v132, v[132:133], off
	v_add_co_u32 v49, vcc_lo, v49, s5
	s_waitcnt lgkmcnt(0)
	v_mul_u32_u24_e32 v130, 0x10001, v10
	global_load_dword v10, v[134:135], off
	v_add_co_ci_u32_e64 v50, null, 0, v50, vcc_lo
	v_add_co_u32 v51, vcc_lo, v51, s5
	v_add_co_ci_u32_e64 v52, null, 0, v52, vcc_lo
	v_add_co_u32 v53, vcc_lo, v53, s5
	;; [unrolled: 2-line block ×38, first 2 shown]
	v_add_co_ci_u32_e64 v124, null, s9, v124, vcc_lo
	s_waitcnt vmcnt(1)
	v_mul_u32_u24_e32 v132, 0x10001, v132
	s_waitcnt vmcnt(0)
	v_ashrrev_i32_e32 v10, v125, v10
	v_and_b32_e32 v131, 0xf0f0f0f, v10
	v_lshrrev_b32_e32 v10, 16, v131
	v_and_b32_e32 v134, 0xf00, v10
	v_lshlrev_b16 v10, 8, v10
	v_add_nc_u16 v10, 0xf800, v10
	v_or_b32_sdwa v10, v134, v10 dst_sel:DWORD dst_unused:UNUSED_PAD src0_sel:DWORD src1_sel:BYTE_1
	v_and_b32_e32 v134, 0xf00, v131
	v_lshlrev_b16 v131, 8, v131
	v_add_nc_u16 v10, 0xf800, v10
	v_add_nc_u16 v131, 0xf800, v131
	v_or_b32_sdwa v131, v134, v131 dst_sel:DWORD dst_unused:UNUSED_PAD src0_sel:DWORD src1_sel:BYTE_1
	v_add_nc_u16 v131, 0xf800, v131
	v_lshrrev_b32_e32 v133, 8, v131
	v_cvt_f16_i16_sdwa v131, sext(v131) dst_sel:DWORD dst_unused:UNUSED_PAD src0_sel:BYTE_0
	v_cvt_f16_i16_sdwa v133, sext(v133) dst_sel:DWORD dst_unused:UNUSED_PAD src0_sel:BYTE_0
	v_pack_b32_f16 v131, v131, v133
	v_lshrrev_b32_e32 v133, 8, v10
	v_cvt_f16_i16_sdwa v10, sext(v10) dst_sel:DWORD dst_unused:UNUSED_PAD src0_sel:BYTE_0
	v_pk_mul_f16 v131, v131, v132
	v_cvt_f16_i16_sdwa v133, sext(v133) dst_sel:DWORD dst_unused:UNUSED_PAD src0_sel:BYTE_0
	v_pk_fma_f16 v12, v131, v130, v12
	v_pack_b32_f16 v10, v10, v133
	v_pk_mul_f16 v132, v10, v132
	v_pk_fma_f16 v10, v131, v129, v11
	v_pk_fma_f16 v11, v132, v129, v13
	;; [unrolled: 1-line block ×3, first 2 shown]
	s_cbranch_scc1 .LBB9_38
; %bb.36:                               ;   in Loop: Header=BB9_27 Depth=1
	v_mov_b32_e32 v129, v30
	v_mov_b32_e32 v128, v31
	s_branch .LBB9_27
.LBB9_37:
	v_mov_b32_e32 v30, 0xfeffffff
	v_mov_b32_e32 v40, 0
	;; [unrolled: 1-line block ×4, first 2 shown]
	s_branch .LBB9_39
.LBB9_38:
	ds_write_b128 v35, v[10:13]
.LBB9_39:
	s_cmp_eq_u64 s[20:21], 0
	s_cselect_b32 s1, -1, 0
	s_cmp_lg_u32 s34, 0
	s_cselect_b32 s2, -1, 0
	s_or_b32 s1, s2, s1
	s_nor_b32 s0, s1, s0
	s_and_saveexec_b32 s1, s0
	s_cbranch_execz .LBB9_41
; %bb.40:
	s_ashr_i32 s39, s38, 31
	v_cmp_eq_u32_e32 vcc_lo, 1, v1
	s_lshl_b64 s[2:3], s[38:39], 2
	s_add_u32 s2, s20, s2
	s_addc_u32 s3, s21, s3
	v_cndmask_b32_e32 v2, v30, v31, vcc_lo
	s_load_dword s0, s[2:3], 0x0
	v_max_f32_e32 v3, v2, v2
	s_waitcnt lgkmcnt(0)
	v_max_f32_e64 v4, s0, s0
	v_max_f32_e32 v4, v4, v3
	v_sub_f32_e32 v5, s0, v4
	v_sub_f32_e32 v6, v2, v4
	v_cndmask_b32_e32 v31, v31, v4, vcc_lo
	v_mul_f32_e32 v2, 0x3fb8aa3b, v5
	v_mul_f32_e32 v3, 0x3fb8aa3b, v6
	v_cmp_ngt_f32_e64 s0, 0xc2ce8ed0, v5
	v_fma_f32 v7, 0x3fb8aa3b, v5, -v2
	v_rndne_f32_e32 v8, v2
	v_fma_f32 v9, 0x3fb8aa3b, v6, -v3
	v_rndne_f32_e32 v10, v3
	v_fmac_f32_e32 v7, 0x32a5705f, v5
	v_sub_f32_e32 v2, v2, v8
	v_fmac_f32_e32 v9, 0x32a5705f, v6
	v_sub_f32_e32 v3, v3, v10
	v_add_f32_e32 v2, v2, v7
	v_cvt_i32_f32_e32 v7, v8
	v_add_f32_e32 v3, v3, v9
	v_cvt_i32_f32_e32 v8, v10
	v_lshl_add_u32 v9, v1, 3, v35
	v_exp_f32_e32 v2, v2
	v_exp_f32_e32 v3, v3
	v_ldexp_f32 v7, v2, v7
	v_ldexp_f32 v8, v3, v8
	ds_read_b64 v[2:3], v9
	v_cndmask_b32_e64 v7, 0, v7, s0
	v_cmp_ngt_f32_e64 s0, 0xc2ce8ed0, v6
	v_cndmask_b32_e64 v8, 0, v8, s0
	v_cmp_nlt_f32_e64 s0, 0x42b17218, v5
	v_cndmask_b32_e64 v5, 0x7f800000, v7, s0
	v_cmp_nlt_f32_e64 s0, 0x42b17218, v6
	v_mov_b32_e32 v7, 0x10001
	v_cndmask_b32_e64 v6, 0x7f800000, v8, s0
	v_cmp_eq_u32_e64 s0, 0, v0
	v_cndmask_b32_e32 v8, v40, v41, vcc_lo
	v_cvt_f16_f32_e32 v10, v6
	v_cndmask_b32_e64 v5, 0, v5, s0
	v_cmp_eq_u32_e64 s0, 0, v1
	v_fmac_f32_e32 v5, v8, v6
	v_mul_u32_u24_sdwa v6, v10, v7 dst_sel:DWORD dst_unused:UNUSED_PAD src0_sel:WORD_0 src1_sel:DWORD
	v_cndmask_b32_e64 v30, v30, v4, s0
	v_cndmask_b32_e32 v41, v41, v5, vcc_lo
	s_waitcnt lgkmcnt(0)
	v_pk_mul_f16 v2, v2, v6
	v_pk_mul_f16 v3, v3, v6
	v_cndmask_b32_e64 v40, v40, v5, s0
	ds_write_b64 v9, v[2:3]
.LBB9_41:
	s_or_b32 exec_lo, exec_lo, s1
	v_add_nc_u32_e32 v4, 0x500, v34
	v_or_b32_e32 v10, 0x400, v34
	s_mov_b32 s0, exec_lo
	v_cmpx_eq_u32_e32 0, v1
	s_cbranch_execz .LBB9_43
; %bb.42:
	v_mov_b32_e32 v2, 0xfeffffff
	v_mov_b32_e32 v3, 0
	ds_write2_b32 v10, v2, v2 offset1:32
	ds_write2_b32 v4, v3, v3 offset1:32
.LBB9_43:
	s_or_b32 exec_lo, exec_lo, s0
	v_cmp_eq_u32_e64 s0, 0, v0
	s_waitcnt lgkmcnt(0)
	s_barrier
	buffer_gl0_inv
	s_and_saveexec_b32 s1, s0
; %bb.44:
	v_lshlrev_b32_e32 v2, 2, v1
	v_add_nc_u32_e32 v2, 0x400, v2
	ds_write2_b32 v2, v30, v31 offset1:32
; %bb.45:
	s_or_b32 exec_lo, exec_lo, s1
	s_cmp_lt_i32 s30, s36
	s_waitcnt lgkmcnt(0)
	s_barrier
	buffer_gl0_inv
	s_cbranch_scc1 .LBB9_47
; %bb.46:
	s_add_u32 s2, s6, 0xd0
	s_addc_u32 s3, s7, 0
	s_cbranch_execz .LBB9_48
	s_branch .LBB9_60
.LBB9_47:
                                        ; implicit-def: $sgpr2_sgpr3
.LBB9_48:
	ds_read_b32 v2, v10
	v_xor_b32_e32 v3, 16, v37
	v_xor_b32_e32 v6, 8, v37
	;; [unrolled: 1-line block ×3, first 2 shown]
	v_lshlrev_b32_e32 v17, 3, v0
	v_cmp_gt_i32_e32 vcc_lo, 32, v3
	v_and_b32_e32 v14, 0x380, v17
	v_cndmask_b32_e32 v3, v37, v3, vcc_lo
	v_cmp_gt_i32_e32 vcc_lo, 32, v6
	v_lshl_add_u32 v18, v1, 8, v14
	v_lshl_add_u32 v1, v1, 2, 0x500
	v_lshlrev_b32_e32 v5, 2, v3
	v_cndmask_b32_e32 v6, v37, v6, vcc_lo
	v_cmp_gt_i32_e32 vcc_lo, 32, v7
	s_waitcnt lgkmcnt(0)
	ds_bpermute_b32 v3, v5, v2
	v_max_f32_e32 v2, v2, v2
	v_lshlrev_b32_e32 v6, 2, v6
	v_cndmask_b32_e32 v7, v37, v7, vcc_lo
	v_lshlrev_b32_e32 v8, 2, v7
	v_xor_b32_e32 v7, 2, v37
	v_cmp_gt_i32_e32 vcc_lo, 32, v7
	v_cndmask_b32_e32 v7, v37, v7, vcc_lo
	s_waitcnt lgkmcnt(0)
	v_max_f32_e32 v3, v3, v3
	v_lshlrev_b32_e32 v9, 2, v7
	v_max_f32_e32 v2, v2, v3
	v_xor_b32_e32 v7, 1, v37
	ds_bpermute_b32 v3, v6, v2
	v_cmp_gt_i32_e32 vcc_lo, 32, v7
	v_cndmask_b32_e32 v7, v37, v7, vcc_lo
	v_lshlrev_b32_e32 v7, 2, v7
	s_waitcnt lgkmcnt(0)
	v_max_f32_e32 v3, v3, v3
	v_max_f32_e32 v2, v2, v3
	ds_bpermute_b32 v3, v8, v2
	s_waitcnt lgkmcnt(0)
	v_max_f32_e32 v3, v3, v3
	v_max_f32_e32 v2, v2, v3
	ds_bpermute_b32 v3, v9, v2
	;; [unrolled: 4-line block ×3, first 2 shown]
	s_waitcnt lgkmcnt(0)
	v_max_f32_e32 v3, v3, v3
	v_max_f32_e32 v2, v2, v3
	v_sub_f32_e32 v3, v30, v2
	v_mul_f32_e32 v11, 0x3fb8aa3b, v3
	v_cmp_ngt_f32_e32 vcc_lo, 0xc2ce8ed0, v3
	v_fma_f32 v12, 0x3fb8aa3b, v3, -v11
	v_rndne_f32_e32 v13, v11
	v_fmamk_f32 v12, v3, 0x32a5705f, v12
	v_sub_f32_e32 v11, v11, v13
	v_add_f32_e32 v11, v11, v12
	v_cvt_i32_f32_e32 v12, v13
	v_mov_b32_e32 v13, 0x10001
	v_exp_f32_e32 v11, v11
	v_ldexp_f32 v11, v11, v12
	v_cndmask_b32_e32 v11, 0, v11, vcc_lo
	v_cmp_nlt_f32_e32 vcc_lo, 0x42b17218, v3
	v_cndmask_b32_e32 v3, 0x7f800000, v11, vcc_lo
	v_mul_f32_e32 v11, v40, v3
	ds_bpermute_b32 v11, v5, v11
	s_waitcnt lgkmcnt(0)
	v_fmac_f32_e32 v11, v40, v3
	v_cvt_f16_f32_e32 v3, v3
	ds_bpermute_b32 v12, v6, v11
	v_mul_u32_u24_sdwa v3, v3, v13 dst_sel:DWORD dst_unused:UNUSED_PAD src0_sel:WORD_0 src1_sel:DWORD
	s_waitcnt lgkmcnt(0)
	v_add_f32_e32 v11, v11, v12
	ds_bpermute_b32 v12, v8, v11
	s_waitcnt lgkmcnt(0)
	v_add_f32_e32 v11, v11, v12
	ds_bpermute_b32 v12, v9, v11
	s_waitcnt lgkmcnt(0)
	v_add_f32_e32 v15, v11, v12
	ds_read_b64 v[11:12], v35
	ds_bpermute_b32 v16, v7, v15
	s_waitcnt lgkmcnt(1)
	v_pk_mul_f16 v13, v11, v3
	v_pk_mul_f16 v14, v12, v3
	v_and_or_b32 v11, 0x78, v17, v18
	ds_write_b64 v35, v[13:14]
	ds_write_b64 v11, v[13:14]
	s_waitcnt lgkmcnt(2)
	v_add_f32_e32 v40, v15, v16
	s_and_saveexec_b32 s1, s0
; %bb.49:
	ds_write_b32 v1, v40
; %bb.50:
	s_or_b32 exec_lo, exec_lo, s1
	v_cmp_gt_u32_e64 s1, 64, v32
	s_mul_i32 s4, s33, s36
	s_add_u32 s2, s6, 0xd0
	s_addc_u32 s3, s7, 0
	s_add_i32 s4, s30, s4
	s_waitcnt lgkmcnt(0)
	s_barrier
	buffer_gl0_inv
	s_and_saveexec_b32 s5, s1
	s_cbranch_execz .LBB9_52
; %bb.51:
	ds_read_b32 v3, v4
	ds_read_u16 v12, v33
	ds_read_u16 v13, v33 offset:128
	ds_read_u16 v14, v33 offset:256
	;; [unrolled: 1-line block ×6, first 2 shown]
	s_load_dword s6, s[2:3], 0x4
	s_mul_i32 s7, s4, s37
	s_add_i32 s7, s7, s38
	s_waitcnt lgkmcnt(0)
	ds_bpermute_b32 v19, v5, v3
	v_cvt_f32_f16_e32 v12, v12
	v_cvt_f32_f16_e32 v13, v13
	;; [unrolled: 1-line block ×4, first 2 shown]
	v_add_f32_e32 v12, 0, v12
	s_mul_i32 s7, s6, s7
	s_add_i32 s7, s7, s34
	v_add_f32_e32 v12, v12, v13
	ds_read_u16 v13, v33 offset:896
	s_cmp_eq_u32 s6, 1
	v_add_f32_e32 v12, v12, v14
	v_cvt_f32_f16_e32 v14, v16
	v_cvt_f32_f16_e32 v16, v17
	s_waitcnt lgkmcnt(1)
	v_add_f32_e32 v3, v3, v19
	v_add_f32_e32 v12, v12, v15
	ds_bpermute_b32 v19, v6, v3
	v_add_f32_e32 v12, v12, v14
	v_cvt_f32_f16_e32 v14, v18
	v_add_f32_e32 v12, v12, v16
	s_waitcnt lgkmcnt(1)
	v_cvt_f32_f16_e32 v13, v13
	v_add_f32_e32 v12, v12, v14
	v_add_f32_e32 v14, v12, v13
	v_mov_b32_e32 v13, 0
	s_waitcnt lgkmcnt(0)
	v_add_f32_e32 v3, v3, v19
	ds_bpermute_b32 v19, v8, v3
	s_waitcnt lgkmcnt(0)
	v_add_f32_e32 v3, v3, v19
	ds_bpermute_b32 v19, v9, v3
	;; [unrolled: 3-line block ×3, first 2 shown]
	s_waitcnt lgkmcnt(0)
	v_add_f32_e32 v40, v3, v15
	v_div_scale_f32 v3, null, v40, v40, v14
	v_div_scale_f32 v16, vcc_lo, v14, v40, v14
	v_rcp_f32_e32 v15, v3
	v_fma_f32 v12, -v3, v15, 1.0
	v_fmac_f32_e32 v15, v12, v15
	v_mul_f32_e32 v17, v16, v15
	v_fma_f32 v12, -v3, v17, v16
	v_fmac_f32_e32 v17, v12, v15
	v_lshl_or_b32 v12, s7, 6, v32
	v_fma_f32 v3, -v3, v17, v16
	v_lshlrev_b64 v[12:13], 2, v[12:13]
	v_div_fmas_f32 v3, v3, v15, v17
	v_add_co_u32 v12, vcc_lo, s24, v12
	v_add_co_ci_u32_e64 v13, null, s25, v13, vcc_lo
	v_div_fixup_f32 v3, v3, v40, v14
	s_cselect_b32 vcc_lo, -1, 0
	v_cndmask_b32_e32 v3, v14, v3, vcc_lo
	global_store_dword v[12:13], v3, off
.LBB9_52:
	s_or_b32 exec_lo, exec_lo, s5
	s_or_b32 s5, s30, 1
	s_waitcnt_vscnt null, 0x0
	s_cmp_ge_i32 s5, s36
	s_barrier
	buffer_gl0_inv
	s_cbranch_scc1 .LBB9_58
; %bb.53:
	ds_read_b32 v3, v10 offset:128
	v_mov_b32_e32 v16, 0x10001
	s_waitcnt lgkmcnt(0)
	ds_bpermute_b32 v10, v5, v3
	v_max_f32_e32 v3, v3, v3
	s_waitcnt lgkmcnt(0)
	v_max_f32_e32 v10, v10, v10
	v_max_f32_e32 v3, v3, v10
	ds_bpermute_b32 v10, v6, v3
	s_waitcnt lgkmcnt(0)
	v_max_f32_e32 v10, v10, v10
	v_max_f32_e32 v3, v3, v10
	ds_bpermute_b32 v10, v8, v3
	;; [unrolled: 4-line block ×4, first 2 shown]
	s_waitcnt lgkmcnt(0)
	v_max_f32_e32 v10, v10, v10
	v_max_f32_e32 v3, v3, v10
	v_sub_f32_e32 v10, v31, v3
	v_mul_f32_e32 v12, 0x3fb8aa3b, v10
	v_cmp_ngt_f32_e32 vcc_lo, 0xc2ce8ed0, v10
	v_fma_f32 v13, 0x3fb8aa3b, v10, -v12
	v_rndne_f32_e32 v14, v12
	v_fmamk_f32 v13, v10, 0x32a5705f, v13
	v_sub_f32_e32 v12, v12, v14
	v_add_f32_e32 v12, v12, v13
	v_cvt_i32_f32_e32 v13, v14
	v_exp_f32_e32 v12, v12
	v_ldexp_f32 v12, v12, v13
	v_cndmask_b32_e32 v12, 0, v12, vcc_lo
	v_cmp_nlt_f32_e32 vcc_lo, 0x42b17218, v10
	v_cndmask_b32_e32 v10, 0x7f800000, v12, vcc_lo
	v_mul_f32_e32 v12, v41, v10
	ds_bpermute_b32 v12, v5, v12
	s_waitcnt lgkmcnt(0)
	v_fmac_f32_e32 v12, v41, v10
	v_cvt_f16_f32_e32 v10, v10
	ds_bpermute_b32 v13, v6, v12
	v_mul_u32_u24_sdwa v10, v10, v16 dst_sel:DWORD dst_unused:UNUSED_PAD src0_sel:WORD_0 src1_sel:DWORD
	s_waitcnt lgkmcnt(0)
	v_add_f32_e32 v12, v12, v13
	ds_bpermute_b32 v13, v8, v12
	s_waitcnt lgkmcnt(0)
	v_add_f32_e32 v12, v12, v13
	ds_bpermute_b32 v13, v9, v12
	s_waitcnt lgkmcnt(0)
	v_add_f32_e32 v14, v12, v13
	ds_read_b64 v[12:13], v35 offset:8
	ds_bpermute_b32 v15, v7, v14
	s_waitcnt lgkmcnt(1)
	v_pk_mul_f16 v12, v12, v10
	v_pk_mul_f16 v13, v13, v10
	ds_write_b64 v35, v[12:13] offset:8
	ds_write_b64 v11, v[12:13]
	s_waitcnt lgkmcnt(2)
	v_add_f32_e32 v41, v14, v15
	s_and_saveexec_b32 s5, s0
; %bb.54:
	ds_write_b32 v1, v41 offset:128
; %bb.55:
	s_or_b32 exec_lo, exec_lo, s5
	s_waitcnt lgkmcnt(0)
	s_barrier
	buffer_gl0_inv
	s_and_saveexec_b32 s0, s1
	s_cbranch_execz .LBB9_57
; %bb.56:
	ds_read_b32 v1, v4 offset:128
	ds_read_u16 v4, v33
	ds_read_u16 v10, v33 offset:128
	ds_read_u16 v11, v33 offset:256
	;; [unrolled: 1-line block ×6, first 2 shown]
	s_load_dword s1, s[2:3], 0x4
	s_add_i32 s4, s4, 1
	s_mul_i32 s4, s4, s37
	s_add_i32 s4, s4, s38
	s_waitcnt lgkmcnt(0)
	ds_bpermute_b32 v5, v5, v1
	v_cvt_f32_f16_e32 v4, v4
	v_add_f32_e32 v4, 0, v4
	s_mul_i32 s4, s1, s4
	s_add_i32 s4, s4, s34
	s_cmp_eq_u32 s1, 1
	s_waitcnt lgkmcnt(0)
	v_add_f32_e32 v1, v1, v5
	ds_bpermute_b32 v5, v6, v1
	v_cvt_f32_f16_e32 v6, v10
	v_add_f32_e32 v4, v4, v6
	ds_read_u16 v6, v33 offset:896
	s_waitcnt lgkmcnt(1)
	v_add_f32_e32 v1, v1, v5
	ds_bpermute_b32 v5, v8, v1
	v_cvt_f32_f16_e32 v8, v11
	s_waitcnt lgkmcnt(1)
	v_cvt_f32_f16_e32 v6, v6
	v_add_f32_e32 v4, v4, v8
	v_cvt_f32_f16_e32 v8, v14
	s_waitcnt lgkmcnt(0)
	v_add_f32_e32 v1, v1, v5
	ds_bpermute_b32 v5, v9, v1
	v_cvt_f32_f16_e32 v9, v12
	v_add_f32_e32 v4, v4, v9
	s_waitcnt lgkmcnt(0)
	v_add_f32_e32 v1, v1, v5
	v_cvt_f32_f16_e32 v5, v13
	ds_bpermute_b32 v7, v7, v1
	v_add_f32_e32 v4, v4, v5
	v_cvt_f32_f16_e32 v5, v15
	v_add_f32_e32 v4, v4, v8
	v_add_f32_e32 v4, v4, v5
	v_mov_b32_e32 v5, 0
	v_add_f32_e32 v6, v4, v6
	s_waitcnt lgkmcnt(0)
	v_add_f32_e32 v41, v1, v7
	v_div_scale_f32 v1, null, v41, v41, v6
	v_div_scale_f32 v8, vcc_lo, v6, v41, v6
	v_rcp_f32_e32 v7, v1
	v_fma_f32 v4, -v1, v7, 1.0
	v_fmac_f32_e32 v7, v4, v7
	v_mul_f32_e32 v9, v8, v7
	v_fma_f32 v4, -v1, v9, v8
	v_fmac_f32_e32 v9, v4, v7
	v_lshl_or_b32 v4, s4, 6, v32
	v_fma_f32 v1, -v1, v9, v8
	v_lshlrev_b64 v[4:5], 2, v[4:5]
	v_div_fmas_f32 v1, v1, v7, v9
	v_add_co_u32 v4, vcc_lo, s24, v4
	v_add_co_ci_u32_e64 v5, null, s25, v5, vcc_lo
	v_div_fixup_f32 v1, v1, v41, v6
	s_cselect_b32 vcc_lo, -1, 0
	v_cndmask_b32_e32 v1, v6, v1, vcc_lo
	global_store_dword v[4:5], v1, off
.LBB9_57:
	s_or_b32 exec_lo, exec_lo, s0
	s_branch .LBB9_59
.LBB9_58:
	v_mov_b32_e32 v3, v31
.LBB9_59:
	v_mov_b32_e32 v31, v3
	v_mov_b32_e32 v30, v2
.LBB9_60:
	s_load_dword s1, s[2:3], 0x4
	v_or_b32_e32 v0, s30, v0
	v_cmp_gt_u32_e32 vcc_lo, 2, v32
	v_cmp_gt_i32_e64 s0, s36, v0
	s_waitcnt lgkmcnt(0)
	s_cmp_lg_u32 s1, 1
	s_cselect_b32 s2, -1, 0
	s_and_b32 s2, s2, vcc_lo
	s_and_b32 s0, s2, s0
	s_and_saveexec_b32 s2, s0
	s_cbranch_execz .LBB9_62
; %bb.61:
	v_mad_u64_u32 v[0:1], null, s33, s36, v[0:1]
	v_cmp_eq_u32_e32 vcc_lo, 1, v32
	v_cndmask_b32_e32 v2, v30, v31, vcc_lo
	v_mad_u64_u32 v[0:1], null, v0, s37, s[38:39]
	v_cndmask_b32_e32 v3, v40, v41, vcc_lo
	v_mad_u64_u32 v[0:1], null, s1, v0, s[34:35]
	v_mov_b32_e32 v1, 0
	v_lshlrev_b64 v[0:1], 3, v[0:1]
	v_add_co_u32 v0, vcc_lo, s26, v0
	v_add_co_ci_u32_e64 v1, null, s27, v1, vcc_lo
	global_store_dwordx2 v[0:1], v[2:3], off
.LBB9_62:
	s_endpgm
	.section	.rodata,"a",@progbits
	.p2align	6, 0x0
	.amdhsa_kernel _ZL18flash_attn_ext_vecILi64ELi2EL9ggml_type2ELS0_2ELb0EEvPKcS2_S2_S2_S2_PKiPfP15HIP_vector_typeIfLj2EEffffjfiS6_IjLj3EEiiiiiiiiiiiliiliiiiil
		.amdhsa_group_segment_fixed_size 3584
		.amdhsa_private_segment_fixed_size 0
		.amdhsa_kernarg_size 464
		.amdhsa_user_sgpr_count 8
		.amdhsa_user_sgpr_private_segment_buffer 1
		.amdhsa_user_sgpr_dispatch_ptr 1
		.amdhsa_user_sgpr_queue_ptr 0
		.amdhsa_user_sgpr_kernarg_segment_ptr 1
		.amdhsa_user_sgpr_dispatch_id 0
		.amdhsa_user_sgpr_flat_scratch_init 0
		.amdhsa_user_sgpr_private_segment_size 0
		.amdhsa_wavefront_size32 1
		.amdhsa_uses_dynamic_stack 0
		.amdhsa_system_sgpr_private_segment_wavefront_offset 0
		.amdhsa_system_sgpr_workgroup_id_x 1
		.amdhsa_system_sgpr_workgroup_id_y 1
		.amdhsa_system_sgpr_workgroup_id_z 1
		.amdhsa_system_sgpr_workgroup_info 0
		.amdhsa_system_vgpr_workitem_id 2
		.amdhsa_next_free_vgpr 149
		.amdhsa_next_free_sgpr 54
		.amdhsa_reserve_vcc 1
		.amdhsa_reserve_flat_scratch 0
		.amdhsa_float_round_mode_32 0
		.amdhsa_float_round_mode_16_64 0
		.amdhsa_float_denorm_mode_32 3
		.amdhsa_float_denorm_mode_16_64 3
		.amdhsa_dx10_clamp 1
		.amdhsa_ieee_mode 1
		.amdhsa_fp16_overflow 0
		.amdhsa_workgroup_processor_mode 1
		.amdhsa_memory_ordered 1
		.amdhsa_forward_progress 1
		.amdhsa_shared_vgpr_count 0
		.amdhsa_exception_fp_ieee_invalid_op 0
		.amdhsa_exception_fp_denorm_src 0
		.amdhsa_exception_fp_ieee_div_zero 0
		.amdhsa_exception_fp_ieee_overflow 0
		.amdhsa_exception_fp_ieee_underflow 0
		.amdhsa_exception_fp_ieee_inexact 0
		.amdhsa_exception_int_div_zero 0
	.end_amdhsa_kernel
	.section	.text._ZL18flash_attn_ext_vecILi64ELi2EL9ggml_type2ELS0_2ELb0EEvPKcS2_S2_S2_S2_PKiPfP15HIP_vector_typeIfLj2EEffffjfiS6_IjLj3EEiiiiiiiiiiiliiliiiiil,"axG",@progbits,_ZL18flash_attn_ext_vecILi64ELi2EL9ggml_type2ELS0_2ELb0EEvPKcS2_S2_S2_S2_PKiPfP15HIP_vector_typeIfLj2EEffffjfiS6_IjLj3EEiiiiiiiiiiiliiliiiiil,comdat
.Lfunc_end9:
	.size	_ZL18flash_attn_ext_vecILi64ELi2EL9ggml_type2ELS0_2ELb0EEvPKcS2_S2_S2_S2_PKiPfP15HIP_vector_typeIfLj2EEffffjfiS6_IjLj3EEiiiiiiiiiiiliiliiiiil, .Lfunc_end9-_ZL18flash_attn_ext_vecILi64ELi2EL9ggml_type2ELS0_2ELb0EEvPKcS2_S2_S2_S2_PKiPfP15HIP_vector_typeIfLj2EEffffjfiS6_IjLj3EEiiiiiiiiiiiliiliiiiil
                                        ; -- End function
	.set _ZL18flash_attn_ext_vecILi64ELi2EL9ggml_type2ELS0_2ELb0EEvPKcS2_S2_S2_S2_PKiPfP15HIP_vector_typeIfLj2EEffffjfiS6_IjLj3EEiiiiiiiiiiiliiliiiiil.num_vgpr, 149
	.set _ZL18flash_attn_ext_vecILi64ELi2EL9ggml_type2ELS0_2ELb0EEvPKcS2_S2_S2_S2_PKiPfP15HIP_vector_typeIfLj2EEffffjfiS6_IjLj3EEiiiiiiiiiiiliiliiiiil.num_agpr, 0
	.set _ZL18flash_attn_ext_vecILi64ELi2EL9ggml_type2ELS0_2ELb0EEvPKcS2_S2_S2_S2_PKiPfP15HIP_vector_typeIfLj2EEffffjfiS6_IjLj3EEiiiiiiiiiiiliiliiiiil.numbered_sgpr, 54
	.set _ZL18flash_attn_ext_vecILi64ELi2EL9ggml_type2ELS0_2ELb0EEvPKcS2_S2_S2_S2_PKiPfP15HIP_vector_typeIfLj2EEffffjfiS6_IjLj3EEiiiiiiiiiiiliiliiiiil.num_named_barrier, 0
	.set _ZL18flash_attn_ext_vecILi64ELi2EL9ggml_type2ELS0_2ELb0EEvPKcS2_S2_S2_S2_PKiPfP15HIP_vector_typeIfLj2EEffffjfiS6_IjLj3EEiiiiiiiiiiiliiliiiiil.private_seg_size, 0
	.set _ZL18flash_attn_ext_vecILi64ELi2EL9ggml_type2ELS0_2ELb0EEvPKcS2_S2_S2_S2_PKiPfP15HIP_vector_typeIfLj2EEffffjfiS6_IjLj3EEiiiiiiiiiiiliiliiiiil.uses_vcc, 1
	.set _ZL18flash_attn_ext_vecILi64ELi2EL9ggml_type2ELS0_2ELb0EEvPKcS2_S2_S2_S2_PKiPfP15HIP_vector_typeIfLj2EEffffjfiS6_IjLj3EEiiiiiiiiiiiliiliiiiil.uses_flat_scratch, 0
	.set _ZL18flash_attn_ext_vecILi64ELi2EL9ggml_type2ELS0_2ELb0EEvPKcS2_S2_S2_S2_PKiPfP15HIP_vector_typeIfLj2EEffffjfiS6_IjLj3EEiiiiiiiiiiiliiliiiiil.has_dyn_sized_stack, 0
	.set _ZL18flash_attn_ext_vecILi64ELi2EL9ggml_type2ELS0_2ELb0EEvPKcS2_S2_S2_S2_PKiPfP15HIP_vector_typeIfLj2EEffffjfiS6_IjLj3EEiiiiiiiiiiiliiliiiiil.has_recursion, 0
	.set _ZL18flash_attn_ext_vecILi64ELi2EL9ggml_type2ELS0_2ELb0EEvPKcS2_S2_S2_S2_PKiPfP15HIP_vector_typeIfLj2EEffffjfiS6_IjLj3EEiiiiiiiiiiiliiliiiiil.has_indirect_call, 0
	.section	.AMDGPU.csdata,"",@progbits
; Kernel info:
; codeLenInByte = 15648
; TotalNumSgprs: 56
; NumVgprs: 149
; ScratchSize: 0
; MemoryBound: 0
; FloatMode: 240
; IeeeMode: 1
; LDSByteSize: 3584 bytes/workgroup (compile time only)
; SGPRBlocks: 0
; VGPRBlocks: 18
; NumSGPRsForWavesPerEU: 56
; NumVGPRsForWavesPerEU: 149
; Occupancy: 6
; WaveLimiterHint : 0
; COMPUTE_PGM_RSRC2:SCRATCH_EN: 0
; COMPUTE_PGM_RSRC2:USER_SGPR: 8
; COMPUTE_PGM_RSRC2:TRAP_HANDLER: 0
; COMPUTE_PGM_RSRC2:TGID_X_EN: 1
; COMPUTE_PGM_RSRC2:TGID_Y_EN: 1
; COMPUTE_PGM_RSRC2:TGID_Z_EN: 1
; COMPUTE_PGM_RSRC2:TIDIG_COMP_CNT: 2
	.section	.text._ZL25flash_attn_mask_to_KV_maxILi2EEvPK7__half2Piiii,"axG",@progbits,_ZL25flash_attn_mask_to_KV_maxILi2EEvPK7__half2Piiii,comdat
	.globl	_ZL25flash_attn_mask_to_KV_maxILi2EEvPK7__half2Piiii ; -- Begin function _ZL25flash_attn_mask_to_KV_maxILi2EEvPK7__half2Piiii
	.p2align	8
	.type	_ZL25flash_attn_mask_to_KV_maxILi2EEvPK7__half2Piiii,@function
_ZL25flash_attn_mask_to_KV_maxILi2EEvPK7__half2Piiii: ; @_ZL25flash_attn_mask_to_KV_maxILi2EEvPK7__half2Piiii
; %bb.0:
	s_load_dwordx4 s[8:11], s[4:5], 0x0
	s_mov_b32 s0, exec_lo
	v_cmpx_gt_u32_e32 32, v0
; %bb.1:
	v_lshlrev_b32_e32 v1, 2, v0
	v_mov_b32_e32 v2, 1
	ds_write_b32 v1, v2
; %bb.2:
	s_or_b32 exec_lo, exec_lo, s0
	s_clause 0x1
	s_load_dwordx4 s[12:15], s[4:5], 0x10
	s_load_dword s1, s[4:5], 0x20
	v_and_b32_e32 v1, 31, v0
	v_lshrrev_b32_e32 v3, 3, v0
	v_mov_b32_e32 v2, 0
	v_mov_b32_e32 v4, 0x204
	s_waitcnt lgkmcnt(0)
	v_lshlrev_b32_e32 v5, 2, v1
	s_barrier
	buffer_gl0_inv
	s_mul_i32 s0, s6, s13
	s_mul_i32 s2, s14, s7
	s_lshl_b32 s0, s0, 1
	s_add_i32 s2, s2, s0
	v_cmp_eq_u32_e64 s0, 0, v1
	s_ashr_i32 s3, s2, 31
	s_lshl_b64 s[4:5], s[2:3], 2
	s_add_u32 s3, s8, s4
	s_addc_u32 s4, s9, s5
	s_lshl_b32 s5, s12, 8
	s_branch .LBB10_4
.LBB10_3:                               ;   in Loop: Header=BB10_4 Depth=1
	s_or_b32 exec_lo, exec_lo, s8
	s_waitcnt lgkmcnt(0)
	s_barrier
	buffer_gl0_inv
	ds_read_b32 v1, v5
	s_waitcnt lgkmcnt(0)
	s_barrier
	buffer_gl0_inv
	v_cmp_ne_u32_e32 vcc_lo, 0, v1
	s_cmp_lg_u32 vcc_lo, exec_lo
	s_cselect_b32 s8, -1, 0
	s_and_b32 vcc_lo, exec_lo, s8
	s_cbranch_vccnz .LBB10_12
.LBB10_4:                               ; =>This Inner Loop Header: Depth=1
	s_mov_b32 s2, s5
	s_addk_i32 s5, 0xff00
	s_cmp_lt_i32 s5, 0
	s_cbranch_scc1 .LBB10_11
; %bb.5:                                ;   in Loop: Header=BB10_4 Depth=1
	s_lshr_b32 s8, s5, 1
	v_add_nc_u32_e32 v1, s8, v0
	v_lshlrev_b64 v[6:7], 2, v[1:2]
	v_add_co_u32 v6, vcc_lo, s3, v6
	v_add_co_ci_u32_e64 v7, null, s4, v7, vcc_lo
	global_load_dword v6, v[6:7], off
	s_waitcnt vmcnt(0)
	v_cmp_class_f16_e64 s8, v6, 0x204
	v_cmp_class_f16_sdwa s9, v6, v4 src0_sel:WORD_1 src1_sel:DWORD
	s_and_b32 s12, s8, s9
	s_mov_b32 s9, 0
	s_and_saveexec_b32 s8, s12
	s_cbranch_execz .LBB10_9
; %bb.6:                                ;   in Loop: Header=BB10_4 Depth=1
	v_add_nc_u32_e32 v6, s13, v1
	v_ashrrev_i32_e32 v7, 31, v6
	v_lshlrev_b64 v[6:7], 2, v[6:7]
	v_add_co_u32 v6, vcc_lo, s3, v6
	v_add_co_ci_u32_e64 v7, null, s4, v7, vcc_lo
	global_load_dword v1, v[6:7], off
	s_waitcnt vmcnt(0)
	v_cmp_class_f16_e64 s14, v1, 0x204
	s_and_saveexec_b32 s12, s14
; %bb.7:                                ;   in Loop: Header=BB10_4 Depth=1
	v_cmp_class_f16_sdwa s9, v1, v4 src0_sel:WORD_1 src1_sel:DWORD
	s_and_b32 s9, s9, exec_lo
; %bb.8:                                ;   in Loop: Header=BB10_4 Depth=1
	s_or_b32 exec_lo, exec_lo, s12
	s_and_b32 s9, s9, exec_lo
.LBB10_9:                               ;   in Loop: Header=BB10_4 Depth=1
	s_or_b32 exec_lo, exec_lo, s8
	v_cndmask_b32_e64 v1, 0, 1, s9
	s_mov_b32 s12, exec_lo
	v_cmp_ne_u32_e32 vcc_lo, 0, v1
	s_and_saveexec_b32 s8, s0
	s_cbranch_execz .LBB10_3
; %bb.10:                               ;   in Loop: Header=BB10_4 Depth=1
	s_cmp_eq_u32 vcc_lo, s12
	s_cselect_b32 s9, -1, 0
	v_cndmask_b32_e64 v1, 0, 1, s9
	ds_write_b32 v3, v1
	s_branch .LBB10_3
.LBB10_11:                              ;   in Loop: Header=BB10_4 Depth=1
	s_cbranch_execz .LBB10_4
.LBB10_12:
	s_mov_b32 s0, exec_lo
	v_cmpx_eq_u32_e32 0, v0
	s_cbranch_execz .LBB10_14
; %bb.13:
	s_mul_i32 s0, s1, s7
	v_mov_b32_e32 v0, 0
	s_add_i32 s0, s0, s6
	v_mov_b32_e32 v1, s2
	s_ashr_i32 s1, s0, 31
	s_lshl_b64 s[0:1], s[0:1], 2
	s_add_u32 s0, s10, s0
	s_addc_u32 s1, s11, s1
	global_store_dword v0, v1, s[0:1]
.LBB10_14:
	s_endpgm
	.section	.rodata,"a",@progbits
	.p2align	6, 0x0
	.amdhsa_kernel _ZL25flash_attn_mask_to_KV_maxILi2EEvPK7__half2Piiii
		.amdhsa_group_segment_fixed_size 128
		.amdhsa_private_segment_fixed_size 0
		.amdhsa_kernarg_size 288
		.amdhsa_user_sgpr_count 6
		.amdhsa_user_sgpr_private_segment_buffer 1
		.amdhsa_user_sgpr_dispatch_ptr 0
		.amdhsa_user_sgpr_queue_ptr 0
		.amdhsa_user_sgpr_kernarg_segment_ptr 1
		.amdhsa_user_sgpr_dispatch_id 0
		.amdhsa_user_sgpr_flat_scratch_init 0
		.amdhsa_user_sgpr_private_segment_size 0
		.amdhsa_wavefront_size32 1
		.amdhsa_uses_dynamic_stack 0
		.amdhsa_system_sgpr_private_segment_wavefront_offset 0
		.amdhsa_system_sgpr_workgroup_id_x 1
		.amdhsa_system_sgpr_workgroup_id_y 1
		.amdhsa_system_sgpr_workgroup_id_z 0
		.amdhsa_system_sgpr_workgroup_info 0
		.amdhsa_system_vgpr_workitem_id 0
		.amdhsa_next_free_vgpr 8
		.amdhsa_next_free_sgpr 16
		.amdhsa_reserve_vcc 1
		.amdhsa_reserve_flat_scratch 0
		.amdhsa_float_round_mode_32 0
		.amdhsa_float_round_mode_16_64 0
		.amdhsa_float_denorm_mode_32 3
		.amdhsa_float_denorm_mode_16_64 3
		.amdhsa_dx10_clamp 1
		.amdhsa_ieee_mode 1
		.amdhsa_fp16_overflow 0
		.amdhsa_workgroup_processor_mode 1
		.amdhsa_memory_ordered 1
		.amdhsa_forward_progress 1
		.amdhsa_shared_vgpr_count 0
		.amdhsa_exception_fp_ieee_invalid_op 0
		.amdhsa_exception_fp_denorm_src 0
		.amdhsa_exception_fp_ieee_div_zero 0
		.amdhsa_exception_fp_ieee_overflow 0
		.amdhsa_exception_fp_ieee_underflow 0
		.amdhsa_exception_fp_ieee_inexact 0
		.amdhsa_exception_int_div_zero 0
	.end_amdhsa_kernel
	.section	.text._ZL25flash_attn_mask_to_KV_maxILi2EEvPK7__half2Piiii,"axG",@progbits,_ZL25flash_attn_mask_to_KV_maxILi2EEvPK7__half2Piiii,comdat
.Lfunc_end10:
	.size	_ZL25flash_attn_mask_to_KV_maxILi2EEvPK7__half2Piiii, .Lfunc_end10-_ZL25flash_attn_mask_to_KV_maxILi2EEvPK7__half2Piiii
                                        ; -- End function
	.set _ZL25flash_attn_mask_to_KV_maxILi2EEvPK7__half2Piiii.num_vgpr, 8
	.set _ZL25flash_attn_mask_to_KV_maxILi2EEvPK7__half2Piiii.num_agpr, 0
	.set _ZL25flash_attn_mask_to_KV_maxILi2EEvPK7__half2Piiii.numbered_sgpr, 16
	.set _ZL25flash_attn_mask_to_KV_maxILi2EEvPK7__half2Piiii.num_named_barrier, 0
	.set _ZL25flash_attn_mask_to_KV_maxILi2EEvPK7__half2Piiii.private_seg_size, 0
	.set _ZL25flash_attn_mask_to_KV_maxILi2EEvPK7__half2Piiii.uses_vcc, 1
	.set _ZL25flash_attn_mask_to_KV_maxILi2EEvPK7__half2Piiii.uses_flat_scratch, 0
	.set _ZL25flash_attn_mask_to_KV_maxILi2EEvPK7__half2Piiii.has_dyn_sized_stack, 0
	.set _ZL25flash_attn_mask_to_KV_maxILi2EEvPK7__half2Piiii.has_recursion, 0
	.set _ZL25flash_attn_mask_to_KV_maxILi2EEvPK7__half2Piiii.has_indirect_call, 0
	.section	.AMDGPU.csdata,"",@progbits
; Kernel info:
; codeLenInByte = 500
; TotalNumSgprs: 18
; NumVgprs: 8
; ScratchSize: 0
; MemoryBound: 0
; FloatMode: 240
; IeeeMode: 1
; LDSByteSize: 128 bytes/workgroup (compile time only)
; SGPRBlocks: 0
; VGPRBlocks: 0
; NumSGPRsForWavesPerEU: 18
; NumVGPRsForWavesPerEU: 8
; Occupancy: 16
; WaveLimiterHint : 0
; COMPUTE_PGM_RSRC2:SCRATCH_EN: 0
; COMPUTE_PGM_RSRC2:USER_SGPR: 6
; COMPUTE_PGM_RSRC2:TRAP_HANDLER: 0
; COMPUTE_PGM_RSRC2:TGID_X_EN: 1
; COMPUTE_PGM_RSRC2:TGID_Y_EN: 1
; COMPUTE_PGM_RSRC2:TGID_Z_EN: 0
; COMPUTE_PGM_RSRC2:TIDIG_COMP_CNT: 0
	.section	.text._ZL33flash_attn_stream_k_fixup_uniformILi64ELi2ELi1EEvPfPK15HIP_vector_typeIfLj2EEiiiiiiS1_IjLj3EES5_S5_,"axG",@progbits,_ZL33flash_attn_stream_k_fixup_uniformILi64ELi2ELi1EEvPfPK15HIP_vector_typeIfLj2EEiiiiiiS1_IjLj3EES5_S5_,comdat
	.globl	_ZL33flash_attn_stream_k_fixup_uniformILi64ELi2ELi1EEvPfPK15HIP_vector_typeIfLj2EEiiiiiiS1_IjLj3EES5_S5_ ; -- Begin function _ZL33flash_attn_stream_k_fixup_uniformILi64ELi2ELi1EEvPfPK15HIP_vector_typeIfLj2EEiiiiiiS1_IjLj3EES5_S5_
	.p2align	8
	.type	_ZL33flash_attn_stream_k_fixup_uniformILi64ELi2ELi1EEvPfPK15HIP_vector_typeIfLj2EEiiiiiiS1_IjLj3EES5_S5_,@function
_ZL33flash_attn_stream_k_fixup_uniformILi64ELi2ELi1EEvPfPK15HIP_vector_typeIfLj2EEiiiiiiS1_IjLj3EES5_S5_: ; @_ZL33flash_attn_stream_k_fixup_uniformILi64ELi2ELi1EEvPfPK15HIP_vector_typeIfLj2EEiiiiiiS1_IjLj3EES5_S5_
; %bb.0:
	s_clause 0x2
	s_load_dwordx8 s[12:19], s[4:5], 0x1c
	s_load_dwordx4 s[20:23], s[4:5], 0x3c
	s_load_dwordx2 s[10:11], s[4:5], 0x10
	s_waitcnt lgkmcnt(0)
	s_mul_hi_u32 s0, s15, s6
	s_add_i32 s0, s6, s0
	s_lshr_b32 s0, s0, s16
	s_mul_i32 s1, s0, s17
	s_sub_i32 s2, s6, s1
	s_mul_hi_u32 s1, s2, s18
	s_add_i32 s1, s2, s1
	s_lshr_b32 s1, s1, s19
	s_mul_i32 s3, s1, s20
	s_sub_i32 s2, s2, s3
	;; [unrolled: 5-line block ×3, first 2 shown]
	s_lshl_b32 s2, s15, 1
	s_add_i32 s2, s2, s7
	s_cmp_lt_i32 s2, s10
	s_cselect_b32 s2, -1, 0
	s_add_i32 s3, s9, s8
	s_cmp_lt_i32 s3, s13
	s_cselect_b32 s3, -1, 0
	s_and_b32 s2, s2, s3
	s_andn2_b32 vcc_lo, exec_lo, s2
	s_cbranch_vccnz .LBB11_6
; %bb.1:
	s_mul_i32 s0, s0, s10
	s_mul_i32 s10, s1, s13
	s_add_i32 s0, s0, s7
	s_mul_i32 s0, s0, s11
	s_add_i32 s13, s0, s8
	s_load_dwordx4 s[0:3], s[4:5], 0x0
	s_add_i32 s4, s13, s10
	s_mul_i32 s5, s11, s15
	s_add_i32 s4, s4, s9
	s_lshl_b32 s5, s5, 7
	s_lshl_b32 s4, s4, 6
	s_add_i32 s8, s7, s8
	s_add_i32 s5, s5, s4
	s_mul_i32 s4, s14, s6
	v_or_b32_e32 v1, s5, v0
	s_add_i32 s9, s4, s14
	v_ashrrev_i32_e32 v2, 31, v1
	v_lshlrev_b64 v[1:2], 2, v[1:2]
	s_waitcnt lgkmcnt(0)
	v_add_co_u32 v1, vcc_lo, s0, v1
	v_add_co_ci_u32_e64 v2, null, s1, v2, vcc_lo
	s_lshl_b32 s0, s9, 1
	s_add_i32 s0, s8, s0
	global_load_dword v5, v[1:2], off
	s_add_i32 s0, s0, -2
	s_ashr_i32 s1, s0, 31
	s_lshl_b64 s[0:1], s[0:1], 3
	s_add_u32 s0, s2, s0
	s_addc_u32 s1, s3, s1
	s_add_i32 s5, s9, -2
	s_load_dword s10, s[0:1], 0x4
	s_cmp_lt_i32 s5, s4
	s_cbranch_scc1 .LBB11_4
; %bb.2:
	s_lshl_b32 s16, s12, 3
	s_load_dword s11, s[0:1], 0x0
	s_ashr_i32 s17, s16, 31
	s_waitcnt lgkmcnt(0)
	v_mov_b32_e32 v6, s10
	s_lshl_b64 s[0:1], s[16:17], 2
	s_add_u32 s5, s2, s0
	s_addc_u32 s7, s3, s1
	s_add_i32 s6, s6, 1
	s_lshl_b32 s1, s8, 6
	s_mul_i32 s0, s14, s6
	s_lshl_b32 s6, s0, 7
	s_lshl_b32 s0, s0, 1
	s_add_i32 s1, s1, s6
	s_add_i32 s0, s8, s0
	v_or_b32_e32 v0, s1, v0
	s_lshl_b32 s1, s12, 1
	s_add_i32 s6, s9, -1
	s_add_i32 s0, s0, s1
	v_add_nc_u32_e32 v3, 0xffffff00, v0
	v_mov_b32_e32 v0, s11
	s_add_i32 s0, s0, -4
.LBB11_3:                               ; =>This Inner Loop Header: Depth=1
	v_ashrrev_i32_e32 v4, 31, v3
	s_ashr_i32 s1, s0, 31
	s_lshl_b64 s[8:9], s[0:1], 3
	s_add_u32 s8, s2, s8
	v_lshlrev_b64 v[7:8], 2, v[3:4]
	s_addc_u32 s9, s3, s9
	v_add_nc_u32_e32 v3, 0xffffff80, v3
	s_add_i32 s6, s6, -1
	s_add_i32 s0, s0, -2
	s_cmp_le_i32 s6, s4
	v_add_co_u32 v7, vcc_lo, s5, v7
	v_add_co_ci_u32_e64 v8, null, s7, v8, vcc_lo
	s_load_dwordx2 s[8:9], s[8:9], 0x0
	global_load_dword v4, v[7:8], off
	v_max_f32_e32 v7, v0, v0
	s_waitcnt lgkmcnt(0)
	v_max_f32_e64 v8, s8, s8
	v_max_f32_e32 v7, v7, v8
	v_sub_f32_e32 v8, s8, v7
	v_sub_f32_e32 v0, v0, v7
	v_mul_f32_e32 v9, 0x3fb8aa3b, v8
	v_mul_f32_e32 v12, 0x3fb8aa3b, v0
	v_cmp_ngt_f32_e32 vcc_lo, 0xc2ce8ed0, v8
	v_fma_f32 v10, 0x3fb8aa3b, v8, -v9
	v_rndne_f32_e32 v11, v9
	v_fma_f32 v13, 0x3fb8aa3b, v0, -v12
	v_rndne_f32_e32 v14, v12
	v_fmac_f32_e32 v10, 0x32a5705f, v8
	v_sub_f32_e32 v9, v9, v11
	v_fmac_f32_e32 v13, 0x32a5705f, v0
	v_cvt_i32_f32_e32 v11, v11
	v_add_f32_e32 v9, v9, v10
	v_sub_f32_e32 v10, v12, v14
	v_exp_f32_e32 v9, v9
	v_add_f32_e32 v10, v10, v13
	v_exp_f32_e32 v10, v10
	v_ldexp_f32 v9, v9, v11
	v_cvt_i32_f32_e32 v11, v14
	v_cndmask_b32_e32 v9, 0, v9, vcc_lo
	v_cmp_nlt_f32_e32 vcc_lo, 0x42b17218, v8
	v_ldexp_f32 v10, v10, v11
	v_mov_b32_e32 v11, v6
	v_cndmask_b32_e32 v9, 0x7f800000, v9, vcc_lo
	v_cmp_ngt_f32_e32 vcc_lo, 0xc2ce8ed0, v0
	v_cndmask_b32_e32 v10, 0, v10, vcc_lo
	v_cmp_le_f32_e32 vcc_lo, 0xc1a00000, v8
	v_cndmask_b32_e32 v8, 0, v9, vcc_lo
	v_cmp_nlt_f32_e32 vcc_lo, 0x42b17218, v0
	s_waitcnt vmcnt(1)
	v_mov_b32_e32 v9, v5
	v_cndmask_b32_e32 v5, 0x7f800000, v10, vcc_lo
	v_mul_f32_e32 v10, s9, v8
	v_cmp_le_f32_e32 vcc_lo, 0xc1a00000, v0
	v_mov_b32_e32 v0, v7
	v_mov_b32_e32 v6, v10
	v_cndmask_b32_e32 v12, 0, v5, vcc_lo
	v_fmac_f32_e32 v6, v11, v12
	s_waitcnt vmcnt(0)
	v_mul_f32_e32 v5, v4, v8
	v_fmac_f32_e32 v5, v9, v12
	s_cbranch_scc0 .LBB11_3
	s_branch .LBB11_5
.LBB11_4:
	s_waitcnt lgkmcnt(0)
	v_mov_b32_e32 v6, s10
.LBB11_5:
	s_waitcnt vmcnt(0)
	v_div_scale_f32 v0, null, v6, v6, v5
	v_rcp_f32_e32 v3, v0
	v_fma_f32 v4, -v0, v3, 1.0
	v_fmac_f32_e32 v3, v4, v3
	v_div_scale_f32 v4, vcc_lo, v5, v6, v5
	v_mul_f32_e32 v7, v4, v3
	v_fma_f32 v8, -v0, v7, v4
	v_fmac_f32_e32 v7, v8, v3
	v_fma_f32 v0, -v0, v7, v4
	v_div_fmas_f32 v0, v0, v3, v7
	v_div_fixup_f32 v0, v0, v6, v5
	global_store_dword v[1:2], v0, off
.LBB11_6:
	s_endpgm
	.section	.rodata,"a",@progbits
	.p2align	6, 0x0
	.amdhsa_kernel _ZL33flash_attn_stream_k_fixup_uniformILi64ELi2ELi1EEvPfPK15HIP_vector_typeIfLj2EEiiiiiiS1_IjLj3EES5_S5_
		.amdhsa_group_segment_fixed_size 0
		.amdhsa_private_segment_fixed_size 0
		.amdhsa_kernarg_size 76
		.amdhsa_user_sgpr_count 6
		.amdhsa_user_sgpr_private_segment_buffer 1
		.amdhsa_user_sgpr_dispatch_ptr 0
		.amdhsa_user_sgpr_queue_ptr 0
		.amdhsa_user_sgpr_kernarg_segment_ptr 1
		.amdhsa_user_sgpr_dispatch_id 0
		.amdhsa_user_sgpr_flat_scratch_init 0
		.amdhsa_user_sgpr_private_segment_size 0
		.amdhsa_wavefront_size32 1
		.amdhsa_uses_dynamic_stack 0
		.amdhsa_system_sgpr_private_segment_wavefront_offset 0
		.amdhsa_system_sgpr_workgroup_id_x 1
		.amdhsa_system_sgpr_workgroup_id_y 1
		.amdhsa_system_sgpr_workgroup_id_z 1
		.amdhsa_system_sgpr_workgroup_info 0
		.amdhsa_system_vgpr_workitem_id 0
		.amdhsa_next_free_vgpr 15
		.amdhsa_next_free_sgpr 24
		.amdhsa_reserve_vcc 1
		.amdhsa_reserve_flat_scratch 0
		.amdhsa_float_round_mode_32 0
		.amdhsa_float_round_mode_16_64 0
		.amdhsa_float_denorm_mode_32 3
		.amdhsa_float_denorm_mode_16_64 3
		.amdhsa_dx10_clamp 1
		.amdhsa_ieee_mode 1
		.amdhsa_fp16_overflow 0
		.amdhsa_workgroup_processor_mode 1
		.amdhsa_memory_ordered 1
		.amdhsa_forward_progress 1
		.amdhsa_shared_vgpr_count 0
		.amdhsa_exception_fp_ieee_invalid_op 0
		.amdhsa_exception_fp_denorm_src 0
		.amdhsa_exception_fp_ieee_div_zero 0
		.amdhsa_exception_fp_ieee_overflow 0
		.amdhsa_exception_fp_ieee_underflow 0
		.amdhsa_exception_fp_ieee_inexact 0
		.amdhsa_exception_int_div_zero 0
	.end_amdhsa_kernel
	.section	.text._ZL33flash_attn_stream_k_fixup_uniformILi64ELi2ELi1EEvPfPK15HIP_vector_typeIfLj2EEiiiiiiS1_IjLj3EES5_S5_,"axG",@progbits,_ZL33flash_attn_stream_k_fixup_uniformILi64ELi2ELi1EEvPfPK15HIP_vector_typeIfLj2EEiiiiiiS1_IjLj3EES5_S5_,comdat
.Lfunc_end11:
	.size	_ZL33flash_attn_stream_k_fixup_uniformILi64ELi2ELi1EEvPfPK15HIP_vector_typeIfLj2EEiiiiiiS1_IjLj3EES5_S5_, .Lfunc_end11-_ZL33flash_attn_stream_k_fixup_uniformILi64ELi2ELi1EEvPfPK15HIP_vector_typeIfLj2EEiiiiiiS1_IjLj3EES5_S5_
                                        ; -- End function
	.set _ZL33flash_attn_stream_k_fixup_uniformILi64ELi2ELi1EEvPfPK15HIP_vector_typeIfLj2EEiiiiiiS1_IjLj3EES5_S5_.num_vgpr, 15
	.set _ZL33flash_attn_stream_k_fixup_uniformILi64ELi2ELi1EEvPfPK15HIP_vector_typeIfLj2EEiiiiiiS1_IjLj3EES5_S5_.num_agpr, 0
	.set _ZL33flash_attn_stream_k_fixup_uniformILi64ELi2ELi1EEvPfPK15HIP_vector_typeIfLj2EEiiiiiiS1_IjLj3EES5_S5_.numbered_sgpr, 24
	.set _ZL33flash_attn_stream_k_fixup_uniformILi64ELi2ELi1EEvPfPK15HIP_vector_typeIfLj2EEiiiiiiS1_IjLj3EES5_S5_.num_named_barrier, 0
	.set _ZL33flash_attn_stream_k_fixup_uniformILi64ELi2ELi1EEvPfPK15HIP_vector_typeIfLj2EEiiiiiiS1_IjLj3EES5_S5_.private_seg_size, 0
	.set _ZL33flash_attn_stream_k_fixup_uniformILi64ELi2ELi1EEvPfPK15HIP_vector_typeIfLj2EEiiiiiiS1_IjLj3EES5_S5_.uses_vcc, 1
	.set _ZL33flash_attn_stream_k_fixup_uniformILi64ELi2ELi1EEvPfPK15HIP_vector_typeIfLj2EEiiiiiiS1_IjLj3EES5_S5_.uses_flat_scratch, 0
	.set _ZL33flash_attn_stream_k_fixup_uniformILi64ELi2ELi1EEvPfPK15HIP_vector_typeIfLj2EEiiiiiiS1_IjLj3EES5_S5_.has_dyn_sized_stack, 0
	.set _ZL33flash_attn_stream_k_fixup_uniformILi64ELi2ELi1EEvPfPK15HIP_vector_typeIfLj2EEiiiiiiS1_IjLj3EES5_S5_.has_recursion, 0
	.set _ZL33flash_attn_stream_k_fixup_uniformILi64ELi2ELi1EEvPfPK15HIP_vector_typeIfLj2EEiiiiiiS1_IjLj3EES5_S5_.has_indirect_call, 0
	.section	.AMDGPU.csdata,"",@progbits
; Kernel info:
; codeLenInByte = 828
; TotalNumSgprs: 26
; NumVgprs: 15
; ScratchSize: 0
; MemoryBound: 0
; FloatMode: 240
; IeeeMode: 1
; LDSByteSize: 0 bytes/workgroup (compile time only)
; SGPRBlocks: 0
; VGPRBlocks: 1
; NumSGPRsForWavesPerEU: 26
; NumVGPRsForWavesPerEU: 15
; Occupancy: 16
; WaveLimiterHint : 0
; COMPUTE_PGM_RSRC2:SCRATCH_EN: 0
; COMPUTE_PGM_RSRC2:USER_SGPR: 6
; COMPUTE_PGM_RSRC2:TRAP_HANDLER: 0
; COMPUTE_PGM_RSRC2:TGID_X_EN: 1
; COMPUTE_PGM_RSRC2:TGID_Y_EN: 1
; COMPUTE_PGM_RSRC2:TGID_Z_EN: 1
; COMPUTE_PGM_RSRC2:TIDIG_COMP_CNT: 0
	.section	.text._ZL33flash_attn_stream_k_fixup_generalILi64ELi2ELi1EEvPfPK15HIP_vector_typeIfLj2EEiiiiS1_IjLj3EES5_S5_S5_,"axG",@progbits,_ZL33flash_attn_stream_k_fixup_generalILi64ELi2ELi1EEvPfPK15HIP_vector_typeIfLj2EEiiiiS1_IjLj3EES5_S5_S5_,comdat
	.globl	_ZL33flash_attn_stream_k_fixup_generalILi64ELi2ELi1EEvPfPK15HIP_vector_typeIfLj2EEiiiiS1_IjLj3EES5_S5_S5_ ; -- Begin function _ZL33flash_attn_stream_k_fixup_generalILi64ELi2ELi1EEvPfPK15HIP_vector_typeIfLj2EEiiiiS1_IjLj3EES5_S5_S5_
	.p2align	8
	.type	_ZL33flash_attn_stream_k_fixup_generalILi64ELi2ELi1EEvPfPK15HIP_vector_typeIfLj2EEiiiiS1_IjLj3EES5_S5_S5_,@function
_ZL33flash_attn_stream_k_fixup_generalILi64ELi2ELi1EEvPfPK15HIP_vector_typeIfLj2EEiiiiS1_IjLj3EES5_S5_S5_: ; @_ZL33flash_attn_stream_k_fixup_generalILi64ELi2ELi1EEvPfPK15HIP_vector_typeIfLj2EEiiiiS1_IjLj3EES5_S5_S5_
; %bb.0:
	s_clause 0x1
	s_load_dwordx4 s[0:3], s[4:5], 0x10
	s_load_dword s9, s[4:5], 0x50
	s_mov_b32 s16, 0
	s_waitcnt lgkmcnt(0)
	s_mul_hi_i32 s17, s3, s6
	s_mul_i32 s18, s3, s6
	s_cmp_lg_u64 s[16:17], 0
	s_cbranch_scc0 .LBB12_21
; %bb.1:
	s_add_u32 s10, s9, 0
	s_addc_u32 s11, 0, 0
	s_xor_b64 s[10:11], s[10:11], 0
	v_cvt_f32_u32_e32 v1, s10
	v_cvt_f32_u32_e32 v2, s11
	s_sub_u32 s14, 0, s10
	s_subb_u32 s15, 0, s11
	v_fmamk_f32 v1, v2, 0x4f800000, v1
	v_rcp_f32_e32 v1, v1
	v_mul_f32_e32 v1, 0x5f7ffffc, v1
	v_mul_f32_e32 v2, 0x2f800000, v1
	v_trunc_f32_e32 v2, v2
	v_fmamk_f32 v1, v2, 0xcf800000, v1
	v_cvt_u32_f32_e32 v2, v2
	v_cvt_u32_f32_e32 v1, v1
	v_readfirstlane_b32 s12, v2
	v_readfirstlane_b32 s13, v1
	s_mul_i32 s19, s14, s12
	s_mul_hi_u32 s21, s14, s13
	s_mul_i32 s20, s15, s13
	s_add_i32 s19, s21, s19
	s_mul_i32 s22, s14, s13
	s_add_i32 s19, s19, s20
	s_mul_hi_u32 s21, s13, s22
	s_mul_i32 s24, s13, s19
	s_mul_hi_u32 s23, s12, s22
	s_mul_i32 s20, s12, s22
	s_mul_hi_u32 s22, s13, s19
	s_add_u32 s21, s21, s24
	s_addc_u32 s22, 0, s22
	s_mul_hi_u32 s25, s12, s19
	s_add_u32 s20, s21, s20
	s_mul_i32 s19, s12, s19
	s_addc_u32 s20, s22, s23
	s_addc_u32 s21, s25, 0
	s_add_u32 s19, s20, s19
	s_addc_u32 s20, 0, s21
	s_add_u32 s13, s13, s19
	s_cselect_b32 s19, -1, 0
	s_mul_hi_u32 s21, s14, s13
	s_cmp_lg_u32 s19, 0
	s_mul_i32 s19, s14, s13
	s_addc_u32 s12, s12, s20
	s_mul_i32 s15, s15, s13
	s_mul_i32 s14, s14, s12
	s_mul_hi_u32 s20, s13, s19
	s_add_i32 s14, s21, s14
	s_mul_hi_u32 s21, s12, s19
	s_add_i32 s14, s14, s15
	s_mul_i32 s15, s12, s19
	s_mul_i32 s23, s13, s14
	s_mul_hi_u32 s22, s13, s14
	s_add_u32 s20, s20, s23
	s_addc_u32 s22, 0, s22
	s_mul_hi_u32 s19, s12, s14
	s_add_u32 s15, s20, s15
	s_mul_i32 s14, s12, s14
	s_addc_u32 s15, s22, s21
	s_addc_u32 s19, s19, 0
	s_add_u32 s14, s15, s14
	s_addc_u32 s15, 0, s19
	s_add_u32 s19, s13, s14
	s_cselect_b32 s13, -1, 0
	s_cmp_lg_u32 s13, 0
	s_addc_u32 s20, s12, s15
	s_ashr_i32 s12, s17, 31
	s_add_u32 s14, s18, s12
	s_mov_b32 s13, s12
	s_addc_u32 s15, s17, s12
	s_xor_b64 s[14:15], s[14:15], s[12:13]
	s_mul_i32 s21, s14, s20
	s_mul_hi_u32 s22, s14, s19
	s_mul_hi_u32 s17, s14, s20
	;; [unrolled: 1-line block ×3, first 2 shown]
	s_mul_i32 s19, s15, s19
	s_add_u32 s21, s22, s21
	s_addc_u32 s17, 0, s17
	s_mul_hi_u32 s23, s15, s20
	s_add_u32 s19, s21, s19
	s_mul_i32 s20, s15, s20
	s_addc_u32 s17, s17, s24
	s_addc_u32 s19, s23, 0
	s_add_u32 s17, s17, s20
	s_addc_u32 s19, 0, s19
	s_mul_hi_u32 s20, s10, s17
	s_mul_i32 s21, s10, s19
	s_mul_i32 s22, s11, s17
	s_add_i32 s20, s20, s21
	s_mul_i32 s21, s10, s17
	s_add_i32 s20, s20, s22
	s_sub_i32 s22, s15, s20
	s_sub_u32 s14, s14, s21
	s_cselect_b32 s21, -1, 0
	s_cmp_lg_u32 s21, 0
	s_subb_u32 s22, s22, s11
	s_sub_u32 s23, s14, s10
	s_cselect_b32 s24, -1, 0
	s_cmp_lg_u32 s24, 0
	s_subb_u32 s22, s22, 0
	s_cmp_ge_u32 s22, s11
	s_cselect_b32 s24, -1, 0
	s_cmp_ge_u32 s23, s10
	s_cselect_b32 s23, -1, 0
	s_cmp_eq_u32 s22, s11
	s_cselect_b32 s22, s23, s24
	s_add_u32 s23, s17, 1
	s_addc_u32 s24, s19, 0
	s_add_u32 s25, s17, 2
	s_addc_u32 s26, s19, 0
	s_cmp_lg_u32 s22, 0
	s_cselect_b32 s22, s25, s23
	s_cselect_b32 s23, s26, s24
	s_cmp_lg_u32 s21, 0
	s_subb_u32 s15, s15, s20
	s_cmp_ge_u32 s15, s11
	s_cselect_b32 s20, -1, 0
	s_cmp_ge_u32 s14, s10
	s_cselect_b32 s10, -1, 0
	s_cmp_eq_u32 s15, s11
	s_cselect_b32 s10, s10, s20
	s_cmp_lg_u32 s10, 0
	s_cselect_b32 s11, s23, s19
	s_cselect_b32 s10, s22, s17
	s_xor_b64 s[12:13], s[12:13], 0
	s_xor_b64 s[10:11], s[10:11], s[12:13]
	s_sub_u32 s10, s10, s12
	s_load_dwordx4 s[12:15], s[4:5], 0x44
	s_andn2_b32 vcc_lo, exec_lo, s16
	s_cbranch_vccnz .LBB12_3
.LBB12_2:
	v_cvt_f32_u32_e32 v1, s9
	s_sub_i32 s11, 0, s9
	v_rcp_iflag_f32_e32 v1, v1
	v_mul_f32_e32 v1, 0x4f7ffffe, v1
	v_cvt_u32_f32_e32 v1, v1
	v_readfirstlane_b32 s10, v1
	s_mul_i32 s11, s11, s10
	s_mul_hi_u32 s11, s10, s11
	s_add_i32 s10, s10, s11
	s_mul_hi_u32 s10, s18, s10
	s_mul_i32 s11, s10, s9
	s_waitcnt lgkmcnt(0)
	s_add_i32 s15, s10, 1
	s_sub_i32 s11, s18, s11
	s_sub_i32 s16, s11, s9
	s_cmp_ge_u32 s11, s9
	s_cselect_b32 s10, s15, s10
	s_cselect_b32 s11, s16, s11
	s_add_i32 s15, s10, 1
	s_cmp_ge_u32 s11, s9
	s_cselect_b32 s10, s15, s10
.LBB12_3:
	s_add_i32 s11, s6, 1
	s_mov_b32 s16, 0
	s_mul_hi_i32 s17, s3, s11
	s_mul_i32 s11, s3, s11
	s_cmp_lg_u64 s[16:17], 0
	s_cbranch_scc0 .LBB12_22
; %bb.4:
	s_add_u32 s18, s9, 0
	s_addc_u32 s19, 0, 0
	s_xor_b64 s[18:19], s[18:19], 0
	v_cvt_f32_u32_e32 v1, s18
	v_cvt_f32_u32_e32 v2, s19
	s_sub_u32 s21, 0, s18
	s_subb_u32 s22, 0, s19
	v_fmamk_f32 v1, v2, 0x4f800000, v1
	v_rcp_f32_e32 v1, v1
	v_mul_f32_e32 v1, 0x5f7ffffc, v1
	v_mul_f32_e32 v2, 0x2f800000, v1
	v_trunc_f32_e32 v2, v2
	v_fmamk_f32 v1, v2, 0xcf800000, v1
	v_cvt_u32_f32_e32 v2, v2
	v_cvt_u32_f32_e32 v1, v1
	s_waitcnt lgkmcnt(0)
	v_readfirstlane_b32 s15, v2
	v_readfirstlane_b32 s20, v1
	s_mul_i32 s23, s21, s15
	s_mul_hi_u32 s25, s21, s20
	s_mul_i32 s24, s22, s20
	s_add_i32 s23, s25, s23
	s_mul_i32 s26, s21, s20
	s_add_i32 s23, s23, s24
	s_mul_hi_u32 s25, s20, s26
	s_mul_i32 s28, s20, s23
	s_mul_hi_u32 s27, s15, s26
	s_mul_i32 s24, s15, s26
	s_mul_hi_u32 s26, s20, s23
	s_add_u32 s25, s25, s28
	s_addc_u32 s26, 0, s26
	s_mul_hi_u32 s29, s15, s23
	s_add_u32 s24, s25, s24
	s_mul_i32 s23, s15, s23
	s_addc_u32 s24, s26, s27
	s_addc_u32 s25, s29, 0
	s_add_u32 s23, s24, s23
	s_addc_u32 s24, 0, s25
	s_add_u32 s20, s20, s23
	s_cselect_b32 s23, -1, 0
	s_mul_hi_u32 s25, s21, s20
	s_cmp_lg_u32 s23, 0
	s_mul_i32 s23, s21, s20
	s_addc_u32 s15, s15, s24
	s_mul_i32 s22, s22, s20
	s_mul_i32 s21, s21, s15
	s_mul_hi_u32 s24, s20, s23
	s_add_i32 s21, s25, s21
	s_mul_hi_u32 s25, s15, s23
	s_add_i32 s21, s21, s22
	s_mul_i32 s22, s15, s23
	s_mul_i32 s27, s20, s21
	s_mul_hi_u32 s26, s20, s21
	s_add_u32 s24, s24, s27
	s_addc_u32 s26, 0, s26
	s_mul_hi_u32 s23, s15, s21
	s_add_u32 s22, s24, s22
	s_mul_i32 s21, s15, s21
	s_addc_u32 s22, s26, s25
	s_addc_u32 s23, s23, 0
	s_add_u32 s21, s22, s21
	s_addc_u32 s22, 0, s23
	s_add_u32 s24, s20, s21
	s_cselect_b32 s20, -1, 0
	s_cmp_lg_u32 s20, 0
	s_addc_u32 s15, s15, s22
	s_ashr_i32 s20, s17, 31
	s_add_u32 s22, s11, s20
	s_mov_b32 s21, s20
	s_addc_u32 s23, s17, s20
	s_xor_b64 s[22:23], s[22:23], s[20:21]
	s_mul_i32 s25, s22, s15
	s_mul_hi_u32 s26, s22, s24
	s_mul_hi_u32 s17, s22, s15
	s_mul_hi_u32 s28, s23, s24
	s_mul_i32 s24, s23, s24
	s_add_u32 s25, s26, s25
	s_addc_u32 s17, 0, s17
	s_mul_hi_u32 s27, s23, s15
	s_add_u32 s24, s25, s24
	s_mul_i32 s15, s23, s15
	s_addc_u32 s17, s17, s28
	s_addc_u32 s24, s27, 0
	s_add_u32 s15, s17, s15
	s_addc_u32 s17, 0, s24
	s_mul_hi_u32 s24, s18, s15
	s_mul_i32 s25, s18, s17
	s_mul_i32 s26, s19, s15
	s_add_i32 s24, s24, s25
	s_mul_i32 s25, s18, s15
	s_add_i32 s24, s24, s26
	s_sub_i32 s26, s23, s24
	s_sub_u32 s22, s22, s25
	s_cselect_b32 s25, -1, 0
	s_cmp_lg_u32 s25, 0
	s_subb_u32 s26, s26, s19
	s_sub_u32 s27, s22, s18
	s_cselect_b32 s28, -1, 0
	s_cmp_lg_u32 s28, 0
	s_subb_u32 s26, s26, 0
	s_cmp_ge_u32 s26, s19
	s_cselect_b32 s28, -1, 0
	s_cmp_ge_u32 s27, s18
	s_cselect_b32 s27, -1, 0
	s_cmp_eq_u32 s26, s19
	s_cselect_b32 s26, s27, s28
	s_add_u32 s27, s15, 1
	s_addc_u32 s28, s17, 0
	s_add_u32 s29, s15, 2
	s_addc_u32 s30, s17, 0
	s_cmp_lg_u32 s26, 0
	s_cselect_b32 s26, s29, s27
	s_cselect_b32 s27, s30, s28
	s_cmp_lg_u32 s25, 0
	s_subb_u32 s23, s23, s24
	s_cmp_ge_u32 s23, s19
	s_cselect_b32 s24, -1, 0
	s_cmp_ge_u32 s22, s18
	s_cselect_b32 s18, -1, 0
	s_cmp_eq_u32 s23, s19
	s_cselect_b32 s18, s18, s24
	s_cmp_lg_u32 s18, 0
	s_cselect_b32 s19, s27, s17
	s_cselect_b32 s18, s26, s15
	s_xor_b64 s[20:21], s[20:21], 0
	s_xor_b64 s[18:19], s[18:19], s[20:21]
	s_sub_u32 s18, s18, s20
	s_andn2_b32 vcc_lo, exec_lo, s16
	s_cbranch_vccnz .LBB12_6
.LBB12_5:
	v_cvt_f32_u32_e32 v1, s9
	s_sub_i32 s16, 0, s9
	v_rcp_iflag_f32_e32 v1, v1
	v_mul_f32_e32 v1, 0x4f7ffffe, v1
	v_cvt_u32_f32_e32 v1, v1
	s_waitcnt lgkmcnt(0)
	v_readfirstlane_b32 s15, v1
	s_mul_i32 s16, s16, s15
	s_mul_hi_u32 s16, s15, s16
	s_add_i32 s15, s15, s16
	s_mul_hi_u32 s15, s11, s15
	s_mul_i32 s16, s15, s9
	s_sub_i32 s11, s11, s16
	s_add_i32 s16, s15, 1
	s_sub_i32 s17, s11, s9
	s_cmp_ge_u32 s11, s9
	s_cselect_b32 s15, s16, s15
	s_cselect_b32 s11, s17, s11
	s_add_i32 s16, s15, 1
	s_cmp_ge_u32 s11, s9
	s_cselect_b32 s18, s16, s15
.LBB12_6:
	s_cmp_eq_u32 s10, s18
	s_waitcnt lgkmcnt(0)
	s_mul_hi_u32 s11, s10, s12
	s_cselect_b32 s15, -1, 0
	s_add_i32 s11, s11, s10
	s_lshr_b32 s11, s11, s13
	s_mul_i32 s16, s11, s14
	s_cmp_eq_u32 s16, s10
	s_mul_hi_u32 s16, s18, s12
	s_cselect_b32 s17, -1, 0
	s_add_i32 s16, s16, s18
	s_lshr_b32 s16, s16, s13
	s_cmp_eq_u32 s11, s16
	s_mul_i32 s16, s16, s14
	s_cselect_b32 s19, -1, 0
	s_cmp_lg_u32 s16, s18
	s_cselect_b32 s16, -1, 0
	s_or_b32 s15, s15, s17
	s_and_b32 s16, s19, s16
	s_or_b32 s15, s15, s16
	s_and_b32 vcc_lo, exec_lo, s15
	s_cbranch_vccnz .LBB12_24
; %bb.7:
	s_load_dwordx8 s[20:27], s[4:5], 0x20
	s_waitcnt lgkmcnt(0)
	s_mul_hi_u32 s15, s10, s20
	s_add_i32 s15, s15, s10
	s_lshr_b32 s20, s15, s21
	s_load_dword s15, s[4:5], 0x40
	s_mul_i32 s16, s20, s22
	s_sub_i32 s16, s10, s16
	s_mul_hi_u32 s17, s16, s23
	s_add_i32 s17, s16, s17
	s_lshr_b32 s22, s17, s24
	s_mul_i32 s17, s22, s25
	s_sub_i32 s16, s16, s17
	s_mul_hi_u32 s17, s16, s26
	s_add_i32 s17, s16, s17
	s_lshr_b32 s23, s17, s27
	s_waitcnt lgkmcnt(0)
	s_mul_i32 s15, s23, s15
	s_sub_i32 s15, s16, s15
	s_mul_hi_u32 s16, s15, s12
	s_add_i32 s15, s15, s16
	s_lshr_b32 s24, s15, s13
	s_lshl_b32 s15, s24, 1
	s_add_i32 s15, s15, s7
	s_cmp_lt_i32 s15, s0
	s_cselect_b32 s15, -1, 0
	s_add_i32 s16, s23, s8
	s_cmp_lt_i32 s16, s2
	s_cselect_b32 s16, -1, 0
	s_and_b32 s15, s15, s16
	s_andn2_b32 vcc_lo, exec_lo, s15
	s_cbranch_vccnz .LBB12_24
; %bb.8:
	s_load_dwordx4 s[16:19], s[4:5], 0x0
	s_mov_b32 s4, 0
	s_lshl_b32 s26, s9, 3
	s_mov_b32 s27, s4
	s_add_i32 s15, s7, s8
	s_lshl_b64 s[26:27], s[26:27], 2
	s_mul_i32 s0, s20, s0
	s_mul_i32 s22, s22, s2
	v_cvt_f32_u32_e32 v4, s9
	v_rcp_iflag_f32_e32 v4, v4
	s_waitcnt lgkmcnt(0)
	s_add_u32 s20, s18, s26
	s_addc_u32 s21, s19, s27
	s_add_i32 s0, s0, s7
	v_mul_f32_e32 v4, 0x4f7ffffe, v4
	s_mul_i32 s0, s0, s1
	s_mul_i32 s1, s1, s24
	s_add_i32 s0, s0, s8
	s_lshl_b32 s1, s1, 7
	s_add_i32 s0, s0, s22
	v_cvt_u32_f32_e32 v4, v4
	s_add_i32 s0, s0, s23
	s_lshl_b32 s0, s0, 6
	s_add_i32 s1, s1, s0
	s_lshl_b32 s0, s6, 1
	v_or_b32_e32 v1, s1, v0
	s_add_i32 s0, s0, s15
	v_lshl_or_b32 v0, s15, 6, v0
	s_ashr_i32 s1, s0, 31
	v_ashrrev_i32_e32 v2, 31, v1
	s_lshl_b64 s[0:1], s[0:1], 3
	s_add_u32 s0, s18, s0
	s_addc_u32 s1, s19, s1
	v_lshlrev_b64 v[1:2], 2, v[1:2]
	s_load_dwordx2 s[0:1], s[0:1], 0x0
	s_add_i32 s8, s6, -1
	s_sub_i32 s2, 0, s9
	v_add_co_u32 v1, vcc_lo, s16, v1
	v_add_co_ci_u32_e64 v2, null, s17, v2, vcc_lo
	global_load_dword v3, v[1:2], off
	s_waitcnt lgkmcnt(0)
	v_mov_b32_e32 v5, s1
	v_mov_b32_e32 v6, s0
.LBB12_9:                               ; =>This Inner Loop Header: Depth=1
	s_mul_hi_i32 s5, s8, s3
	s_mul_i32 s6, s8, s3
	s_cmp_lg_u64 s[4:5], 0
	s_mov_b32 s7, -1
                                        ; implicit-def: $sgpr0_sgpr1
	s_cbranch_scc0 .LBB12_11
; %bb.10:                               ;   in Loop: Header=BB12_9 Depth=1
	s_add_u32 s0, s9, 0
	s_addc_u32 s1, 0, 0
	s_xor_b64 s[0:1], s[0:1], 0
	v_cvt_f32_u32_e32 v7, s0
	v_cvt_f32_u32_e32 v8, s1
	s_sub_u32 s17, 0, s0
	s_subb_u32 s22, 0, s1
	v_fmac_f32_e32 v7, 0x4f800000, v8
	v_rcp_f32_e32 v7, v7
	v_mul_f32_e32 v7, 0x5f7ffffc, v7
	v_mul_f32_e32 v8, 0x2f800000, v7
	v_trunc_f32_e32 v8, v8
	v_fmac_f32_e32 v7, 0xcf800000, v8
	v_cvt_u32_f32_e32 v8, v8
	v_cvt_u32_f32_e32 v7, v7
	v_readfirstlane_b32 s7, v8
	v_readfirstlane_b32 s16, v7
	s_mul_i32 s23, s17, s7
	s_mul_hi_u32 s25, s17, s16
	s_mul_i32 s24, s22, s16
	s_add_i32 s23, s25, s23
	s_mul_i32 s26, s17, s16
	s_add_i32 s23, s23, s24
	s_mul_hi_u32 s25, s16, s26
	s_mul_i32 s28, s16, s23
	s_mul_hi_u32 s27, s7, s26
	s_mul_i32 s24, s7, s26
	s_mul_hi_u32 s26, s16, s23
	s_add_u32 s25, s25, s28
	s_addc_u32 s26, 0, s26
	s_mul_hi_u32 s29, s7, s23
	s_add_u32 s24, s25, s24
	s_mul_i32 s23, s7, s23
	s_addc_u32 s24, s26, s27
	s_addc_u32 s25, s29, 0
	s_add_u32 s23, s24, s23
	s_addc_u32 s24, 0, s25
	s_add_u32 s16, s16, s23
	s_cselect_b32 s23, -1, 0
	s_mul_hi_u32 s25, s17, s16
	s_cmp_lg_u32 s23, 0
	s_mul_i32 s23, s17, s16
	s_addc_u32 s7, s7, s24
	s_mul_i32 s22, s22, s16
	s_mul_i32 s17, s17, s7
	s_mul_hi_u32 s24, s16, s23
	s_add_i32 s17, s25, s17
	s_mul_hi_u32 s25, s7, s23
	s_add_i32 s17, s17, s22
	s_mul_i32 s22, s7, s23
	s_mul_i32 s27, s16, s17
	s_mul_hi_u32 s26, s16, s17
	s_add_u32 s24, s24, s27
	s_addc_u32 s26, 0, s26
	s_mul_hi_u32 s23, s7, s17
	s_add_u32 s22, s24, s22
	s_mul_i32 s17, s7, s17
	s_addc_u32 s22, s26, s25
	s_addc_u32 s23, s23, 0
	s_add_u32 s17, s22, s17
	s_addc_u32 s22, 0, s23
	s_add_u32 s24, s16, s17
	s_cselect_b32 s16, -1, 0
	s_cmp_lg_u32 s16, 0
	s_addc_u32 s7, s7, s22
	s_ashr_i32 s16, s5, 31
	s_add_u32 s22, s6, s16
	s_mov_b32 s17, s16
	s_addc_u32 s23, s5, s16
	s_xor_b64 s[22:23], s[22:23], s[16:17]
	s_mul_i32 s25, s22, s7
	s_mul_hi_u32 s26, s22, s24
	s_mul_hi_u32 s5, s22, s7
	;; [unrolled: 1-line block ×3, first 2 shown]
	s_mul_i32 s24, s23, s24
	s_add_u32 s25, s26, s25
	s_addc_u32 s5, 0, s5
	s_mul_hi_u32 s27, s23, s7
	s_add_u32 s24, s25, s24
	s_mul_i32 s7, s23, s7
	s_addc_u32 s5, s5, s28
	s_addc_u32 s24, s27, 0
	s_add_u32 s5, s5, s7
	s_addc_u32 s7, 0, s24
	s_mul_hi_u32 s24, s0, s5
	s_mul_i32 s25, s0, s7
	s_mul_i32 s26, s1, s5
	s_add_i32 s24, s24, s25
	s_mul_i32 s25, s0, s5
	s_add_i32 s24, s24, s26
	s_sub_i32 s26, s23, s24
	s_sub_u32 s22, s22, s25
	s_cselect_b32 s25, -1, 0
	s_cmp_lg_u32 s25, 0
	s_subb_u32 s26, s26, s1
	s_sub_u32 s27, s22, s0
	s_cselect_b32 s28, -1, 0
	s_cmp_lg_u32 s28, 0
	s_subb_u32 s26, s26, 0
	s_cmp_ge_u32 s26, s1
	s_cselect_b32 s28, -1, 0
	s_cmp_ge_u32 s27, s0
	s_cselect_b32 s27, -1, 0
	s_cmp_eq_u32 s26, s1
	s_cselect_b32 s26, s27, s28
	s_add_u32 s27, s5, 1
	s_addc_u32 s28, s7, 0
	s_add_u32 s29, s5, 2
	s_addc_u32 s30, s7, 0
	s_cmp_lg_u32 s26, 0
	s_cselect_b32 s26, s29, s27
	s_cselect_b32 s27, s30, s28
	s_cmp_lg_u32 s25, 0
	s_subb_u32 s23, s23, s24
	s_cmp_ge_u32 s23, s1
	s_cselect_b32 s24, -1, 0
	s_cmp_ge_u32 s22, s0
	s_cselect_b32 s0, -1, 0
	s_cmp_eq_u32 s23, s1
	s_cselect_b32 s0, s0, s24
	s_cmp_lg_u32 s0, 0
	s_cselect_b32 s1, s27, s7
	s_cselect_b32 s0, s26, s5
	s_xor_b64 s[16:17], s[16:17], 0
	s_mov_b32 s7, 0
	s_xor_b64 s[0:1], s[0:1], s[16:17]
	s_sub_u32 s0, s0, s16
.LBB12_11:                              ;   in Loop: Header=BB12_9 Depth=1
	s_andn2_b32 vcc_lo, exec_lo, s7
	s_cbranch_vccnz .LBB12_13
; %bb.12:                               ;   in Loop: Header=BB12_9 Depth=1
	v_readfirstlane_b32 s0, v4
	s_mul_i32 s1, s2, s0
	s_mul_hi_u32 s1, s0, s1
	s_add_i32 s0, s0, s1
	s_mul_hi_u32 s0, s6, s0
	s_mul_i32 s1, s0, s9
	s_add_i32 s5, s0, 1
	s_sub_i32 s1, s6, s1
	s_sub_i32 s6, s1, s9
	s_cmp_ge_u32 s1, s9
	s_cselect_b32 s0, s5, s0
	s_cselect_b32 s1, s6, s1
	s_add_i32 s5, s0, 1
	s_cmp_ge_u32 s1, s9
	s_cselect_b32 s0, s5, s0
.LBB12_13:                              ;   in Loop: Header=BB12_9 Depth=1
	s_cmp_lg_u32 s10, s0
	s_mov_b32 s6, -1
                                        ; implicit-def: $sgpr5
                                        ; implicit-def: $vgpr8
                                        ; implicit-def: $vgpr7
                                        ; implicit-def: $vgpr9
                                        ; implicit-def: $sgpr1
                                        ; implicit-def: $sgpr16
	s_cbranch_scc0 .LBB12_18
; %bb.14:                               ;   in Loop: Header=BB12_9 Depth=1
	s_add_i32 s1, s8, s9
	s_mov_b32 s7, s4
	s_lshl_b32 s1, s1, 1
	s_mov_b32 s16, s10
	s_add_i32 s6, s1, s15
	s_mul_hi_u32 s1, s0, s12
	s_lshl_b64 s[6:7], s[6:7], 3
	s_add_u32 s6, s18, s6
	s_addc_u32 s7, s19, s7
	s_add_i32 s1, s1, s0
	s_lshr_b32 s1, s1, s13
	s_mul_i32 s5, s1, s14
	s_cmp_eq_u32 s5, s0
	s_cselect_b32 s5, -1, 0
	s_cmp_lt_u32 s1, s11
	s_cselect_b32 s1, -1, 0
	s_or_b32 s1, s1, s5
	s_mov_b32 s5, -1
	s_and_b32 vcc_lo, exec_lo, s1
	s_mov_b32 s1, s8
	s_cbranch_vccnz .LBB12_16
; %bb.15:                               ;   in Loop: Header=BB12_9 Depth=1
	s_add_i32 s1, s8, -1
	s_mov_b32 s5, 0
	s_mov_b32 s16, s0
.LBB12_16:                              ;   in Loop: Header=BB12_9 Depth=1
	v_lshl_add_u32 v7, s8, 7, v0
	s_load_dwordx2 s[6:7], s[6:7], 0x0
	v_ashrrev_i32_e32 v8, 31, v7
	v_lshlrev_b64 v[7:8], 2, v[7:8]
	v_add_co_u32 v7, vcc_lo, s20, v7
	v_add_co_ci_u32_e64 v8, null, s21, v8, vcc_lo
	s_waitcnt lgkmcnt(0)
	v_max_f32_e64 v9, s6, s6
	global_load_dword v8, v[7:8], off
	v_max_f32_e32 v7, v6, v6
	v_max_f32_e32 v7, v7, v9
	v_sub_f32_e32 v9, s6, v7
	v_sub_f32_e32 v10, v6, v7
	v_mul_f32_e32 v11, 0x3fb8aa3b, v9
	v_mul_f32_e32 v12, 0x3fb8aa3b, v10
	v_cmp_ngt_f32_e32 vcc_lo, 0xc2ce8ed0, v9
	v_fma_f32 v13, 0x3fb8aa3b, v9, -v11
	v_rndne_f32_e32 v14, v11
	v_fma_f32 v15, 0x3fb8aa3b, v10, -v12
	v_rndne_f32_e32 v16, v12
	v_fmac_f32_e32 v13, 0x32a5705f, v9
	v_sub_f32_e32 v11, v11, v14
	v_fmac_f32_e32 v15, 0x32a5705f, v10
	v_sub_f32_e32 v12, v12, v16
	v_add_f32_e32 v11, v11, v13
	v_cvt_i32_f32_e32 v13, v14
	v_add_f32_e32 v12, v12, v15
	v_cvt_i32_f32_e32 v14, v16
	v_exp_f32_e32 v11, v11
	v_exp_f32_e32 v12, v12
	v_ldexp_f32 v11, v11, v13
	v_ldexp_f32 v12, v12, v14
	v_cndmask_b32_e32 v11, 0, v11, vcc_lo
	v_cmp_ngt_f32_e32 vcc_lo, 0xc2ce8ed0, v10
	v_cndmask_b32_e32 v12, 0, v12, vcc_lo
	v_cmp_nlt_f32_e32 vcc_lo, 0x42b17218, v9
	v_cndmask_b32_e32 v11, 0x7f800000, v11, vcc_lo
	v_cmp_nlt_f32_e32 vcc_lo, 0x42b17218, v10
	v_cndmask_b32_e32 v12, 0x7f800000, v12, vcc_lo
	v_cmp_le_f32_e32 vcc_lo, 0xc1a00000, v9
	v_cndmask_b32_e32 v9, 0, v11, vcc_lo
	v_cmp_le_f32_e32 vcc_lo, 0xc1a00000, v10
	v_cndmask_b32_e32 v10, 0, v12, vcc_lo
	s_waitcnt vmcnt(0)
	v_mul_f32_e32 v8, v8, v9
	v_mul_f32_e32 v9, s7, v9
	v_fmac_f32_e32 v8, v3, v10
	v_fmac_f32_e32 v9, v5, v10
	s_cbranch_execz .LBB12_19
.LBB12_17:                              ;   in Loop: Header=BB12_9 Depth=1
	s_andn2_b32 vcc_lo, exec_lo, s5
	s_cbranch_vccnz .LBB12_20
	s_branch .LBB12_23
.LBB12_18:                              ;   in Loop: Header=BB12_9 Depth=1
	s_andn2_b32 vcc_lo, exec_lo, s6
	s_cbranch_vccnz .LBB12_17
.LBB12_19:                              ;   in Loop: Header=BB12_9 Depth=1
	v_mov_b32_e32 v9, v5
	v_mov_b32_e32 v7, v6
	s_waitcnt vmcnt(0)
	v_mov_b32_e32 v8, v3
	s_add_i32 s1, s8, -1
	s_mov_b32 s16, s10
	s_cbranch_execz .LBB12_23
.LBB12_20:                              ;   in Loop: Header=BB12_9 Depth=1
	v_mov_b32_e32 v5, v9
	v_mov_b32_e32 v6, v7
	s_waitcnt vmcnt(0)
	v_mov_b32_e32 v3, v8
	s_mov_b32 s10, s16
	s_mov_b32 s8, s1
	s_branch .LBB12_9
.LBB12_21:
                                        ; implicit-def: $sgpr10_sgpr11
	s_load_dwordx4 s[12:15], s[4:5], 0x44
	s_branch .LBB12_2
.LBB12_22:
                                        ; implicit-def: $sgpr18_sgpr19
	s_branch .LBB12_5
.LBB12_23:
	v_div_scale_f32 v0, null, v9, v9, v8
	s_waitcnt vmcnt(0)
	v_rcp_f32_e32 v3, v0
	v_fma_f32 v4, -v0, v3, 1.0
	v_fmac_f32_e32 v3, v4, v3
	v_div_scale_f32 v4, vcc_lo, v8, v9, v8
	v_mul_f32_e32 v5, v4, v3
	v_fma_f32 v6, -v0, v5, v4
	v_fmac_f32_e32 v5, v6, v3
	v_fma_f32 v0, -v0, v5, v4
	v_div_fmas_f32 v0, v0, v3, v5
	v_div_fixup_f32 v0, v0, v9, v8
	global_store_dword v[1:2], v0, off
.LBB12_24:
	s_endpgm
	.section	.rodata,"a",@progbits
	.p2align	6, 0x0
	.amdhsa_kernel _ZL33flash_attn_stream_k_fixup_generalILi64ELi2ELi1EEvPfPK15HIP_vector_typeIfLj2EEiiiiS1_IjLj3EES5_S5_S5_
		.amdhsa_group_segment_fixed_size 0
		.amdhsa_private_segment_fixed_size 0
		.amdhsa_kernarg_size 336
		.amdhsa_user_sgpr_count 6
		.amdhsa_user_sgpr_private_segment_buffer 1
		.amdhsa_user_sgpr_dispatch_ptr 0
		.amdhsa_user_sgpr_queue_ptr 0
		.amdhsa_user_sgpr_kernarg_segment_ptr 1
		.amdhsa_user_sgpr_dispatch_id 0
		.amdhsa_user_sgpr_flat_scratch_init 0
		.amdhsa_user_sgpr_private_segment_size 0
		.amdhsa_wavefront_size32 1
		.amdhsa_uses_dynamic_stack 0
		.amdhsa_system_sgpr_private_segment_wavefront_offset 0
		.amdhsa_system_sgpr_workgroup_id_x 1
		.amdhsa_system_sgpr_workgroup_id_y 1
		.amdhsa_system_sgpr_workgroup_id_z 1
		.amdhsa_system_sgpr_workgroup_info 0
		.amdhsa_system_vgpr_workitem_id 0
		.amdhsa_next_free_vgpr 17
		.amdhsa_next_free_sgpr 31
		.amdhsa_reserve_vcc 1
		.amdhsa_reserve_flat_scratch 0
		.amdhsa_float_round_mode_32 0
		.amdhsa_float_round_mode_16_64 0
		.amdhsa_float_denorm_mode_32 3
		.amdhsa_float_denorm_mode_16_64 3
		.amdhsa_dx10_clamp 1
		.amdhsa_ieee_mode 1
		.amdhsa_fp16_overflow 0
		.amdhsa_workgroup_processor_mode 1
		.amdhsa_memory_ordered 1
		.amdhsa_forward_progress 1
		.amdhsa_shared_vgpr_count 0
		.amdhsa_exception_fp_ieee_invalid_op 0
		.amdhsa_exception_fp_denorm_src 0
		.amdhsa_exception_fp_ieee_div_zero 0
		.amdhsa_exception_fp_ieee_overflow 0
		.amdhsa_exception_fp_ieee_underflow 0
		.amdhsa_exception_fp_ieee_inexact 0
		.amdhsa_exception_int_div_zero 0
	.end_amdhsa_kernel
	.section	.text._ZL33flash_attn_stream_k_fixup_generalILi64ELi2ELi1EEvPfPK15HIP_vector_typeIfLj2EEiiiiS1_IjLj3EES5_S5_S5_,"axG",@progbits,_ZL33flash_attn_stream_k_fixup_generalILi64ELi2ELi1EEvPfPK15HIP_vector_typeIfLj2EEiiiiS1_IjLj3EES5_S5_S5_,comdat
.Lfunc_end12:
	.size	_ZL33flash_attn_stream_k_fixup_generalILi64ELi2ELi1EEvPfPK15HIP_vector_typeIfLj2EEiiiiS1_IjLj3EES5_S5_S5_, .Lfunc_end12-_ZL33flash_attn_stream_k_fixup_generalILi64ELi2ELi1EEvPfPK15HIP_vector_typeIfLj2EEiiiiS1_IjLj3EES5_S5_S5_
                                        ; -- End function
	.set _ZL33flash_attn_stream_k_fixup_generalILi64ELi2ELi1EEvPfPK15HIP_vector_typeIfLj2EEiiiiS1_IjLj3EES5_S5_S5_.num_vgpr, 17
	.set _ZL33flash_attn_stream_k_fixup_generalILi64ELi2ELi1EEvPfPK15HIP_vector_typeIfLj2EEiiiiS1_IjLj3EES5_S5_S5_.num_agpr, 0
	.set _ZL33flash_attn_stream_k_fixup_generalILi64ELi2ELi1EEvPfPK15HIP_vector_typeIfLj2EEiiiiS1_IjLj3EES5_S5_S5_.numbered_sgpr, 31
	.set _ZL33flash_attn_stream_k_fixup_generalILi64ELi2ELi1EEvPfPK15HIP_vector_typeIfLj2EEiiiiS1_IjLj3EES5_S5_S5_.num_named_barrier, 0
	.set _ZL33flash_attn_stream_k_fixup_generalILi64ELi2ELi1EEvPfPK15HIP_vector_typeIfLj2EEiiiiS1_IjLj3EES5_S5_S5_.private_seg_size, 0
	.set _ZL33flash_attn_stream_k_fixup_generalILi64ELi2ELi1EEvPfPK15HIP_vector_typeIfLj2EEiiiiS1_IjLj3EES5_S5_S5_.uses_vcc, 1
	.set _ZL33flash_attn_stream_k_fixup_generalILi64ELi2ELi1EEvPfPK15HIP_vector_typeIfLj2EEiiiiS1_IjLj3EES5_S5_S5_.uses_flat_scratch, 0
	.set _ZL33flash_attn_stream_k_fixup_generalILi64ELi2ELi1EEvPfPK15HIP_vector_typeIfLj2EEiiiiS1_IjLj3EES5_S5_S5_.has_dyn_sized_stack, 0
	.set _ZL33flash_attn_stream_k_fixup_generalILi64ELi2ELi1EEvPfPK15HIP_vector_typeIfLj2EEiiiiS1_IjLj3EES5_S5_S5_.has_recursion, 0
	.set _ZL33flash_attn_stream_k_fixup_generalILi64ELi2ELi1EEvPfPK15HIP_vector_typeIfLj2EEiiiiS1_IjLj3EES5_S5_S5_.has_indirect_call, 0
	.section	.AMDGPU.csdata,"",@progbits
; Kernel info:
; codeLenInByte = 2936
; TotalNumSgprs: 33
; NumVgprs: 17
; ScratchSize: 0
; MemoryBound: 0
; FloatMode: 240
; IeeeMode: 1
; LDSByteSize: 0 bytes/workgroup (compile time only)
; SGPRBlocks: 0
; VGPRBlocks: 2
; NumSGPRsForWavesPerEU: 33
; NumVGPRsForWavesPerEU: 17
; Occupancy: 16
; WaveLimiterHint : 0
; COMPUTE_PGM_RSRC2:SCRATCH_EN: 0
; COMPUTE_PGM_RSRC2:USER_SGPR: 6
; COMPUTE_PGM_RSRC2:TRAP_HANDLER: 0
; COMPUTE_PGM_RSRC2:TGID_X_EN: 1
; COMPUTE_PGM_RSRC2:TGID_Y_EN: 1
; COMPUTE_PGM_RSRC2:TGID_Z_EN: 1
; COMPUTE_PGM_RSRC2:TIDIG_COMP_CNT: 0
	.section	.text._ZL18flash_attn_ext_vecILi64ELi2EL9ggml_type2ELS0_2ELb1EEvPKcS2_S2_S2_S2_PKiPfP15HIP_vector_typeIfLj2EEffffjfiS6_IjLj3EEiiiiiiiiiiiliiliiiiil,"axG",@progbits,_ZL18flash_attn_ext_vecILi64ELi2EL9ggml_type2ELS0_2ELb1EEvPKcS2_S2_S2_S2_PKiPfP15HIP_vector_typeIfLj2EEffffjfiS6_IjLj3EEiiiiiiiiiiiliiliiiiil,comdat
	.globl	_ZL18flash_attn_ext_vecILi64ELi2EL9ggml_type2ELS0_2ELb1EEvPKcS2_S2_S2_S2_PKiPfP15HIP_vector_typeIfLj2EEffffjfiS6_IjLj3EEiiiiiiiiiiiliiliiiiil ; -- Begin function _ZL18flash_attn_ext_vecILi64ELi2EL9ggml_type2ELS0_2ELb1EEvPKcS2_S2_S2_S2_PKiPfP15HIP_vector_typeIfLj2EEffffjfiS6_IjLj3EEiiiiiiiiiiiliiliiiiil
	.p2align	8
	.type	_ZL18flash_attn_ext_vecILi64ELi2EL9ggml_type2ELS0_2ELb1EEvPKcS2_S2_S2_S2_PKiPfP15HIP_vector_typeIfLj2EEffffjfiS6_IjLj3EEiiiiiiiiiiiliiliiiiil,@function
_ZL18flash_attn_ext_vecILi64ELi2EL9ggml_type2ELS0_2ELb1EEvPKcS2_S2_S2_S2_PKiPfP15HIP_vector_typeIfLj2EEffffjfiS6_IjLj3EEiiiiiiiiiiiliiliiiiil: ; @_ZL18flash_attn_ext_vecILi64ELi2EL9ggml_type2ELS0_2ELb1EEvPKcS2_S2_S2_S2_PKiPfP15HIP_vector_typeIfLj2EEffffjfiS6_IjLj3EEiiiiiiiiiiiliiliiiiil
; %bb.0:
	s_add_u32 s0, s0, s7
	s_addc_u32 s1, s1, 0
	s_add_u32 s8, s4, 0xd0
	s_addc_u32 s9, s5, 0
	s_getpc_b64 s[4:5]
	s_add_u32 s4, s4, _ZL14no_device_codePKciS0_iS0_@rel32@lo+4
	s_addc_u32 s5, s5, _ZL14no_device_codePKciS0_iS0_@rel32@hi+12
	s_mov_b32 s32, 0
	s_swappc_b64 s[30:31], s[4:5]
	.section	.rodata,"a",@progbits
	.p2align	6, 0x0
	.amdhsa_kernel _ZL18flash_attn_ext_vecILi64ELi2EL9ggml_type2ELS0_2ELb1EEvPKcS2_S2_S2_S2_PKiPfP15HIP_vector_typeIfLj2EEffffjfiS6_IjLj3EEiiiiiiiiiiiliiliiiiil
		.amdhsa_group_segment_fixed_size 0
		.amdhsa_private_segment_fixed_size 16
		.amdhsa_kernarg_size 464
		.amdhsa_user_sgpr_count 6
		.amdhsa_user_sgpr_private_segment_buffer 1
		.amdhsa_user_sgpr_dispatch_ptr 0
		.amdhsa_user_sgpr_queue_ptr 0
		.amdhsa_user_sgpr_kernarg_segment_ptr 1
		.amdhsa_user_sgpr_dispatch_id 0
		.amdhsa_user_sgpr_flat_scratch_init 0
		.amdhsa_user_sgpr_private_segment_size 0
		.amdhsa_wavefront_size32 1
		.amdhsa_uses_dynamic_stack 0
		.amdhsa_system_sgpr_private_segment_wavefront_offset 1
		.amdhsa_system_sgpr_workgroup_id_x 1
		.amdhsa_system_sgpr_workgroup_id_y 0
		.amdhsa_system_sgpr_workgroup_id_z 0
		.amdhsa_system_sgpr_workgroup_info 0
		.amdhsa_system_vgpr_workitem_id 0
		.amdhsa_next_free_vgpr 40
		.amdhsa_next_free_sgpr 34
		.amdhsa_reserve_vcc 1
		.amdhsa_reserve_flat_scratch 0
		.amdhsa_float_round_mode_32 0
		.amdhsa_float_round_mode_16_64 0
		.amdhsa_float_denorm_mode_32 3
		.amdhsa_float_denorm_mode_16_64 3
		.amdhsa_dx10_clamp 1
		.amdhsa_ieee_mode 1
		.amdhsa_fp16_overflow 0
		.amdhsa_workgroup_processor_mode 1
		.amdhsa_memory_ordered 1
		.amdhsa_forward_progress 1
		.amdhsa_shared_vgpr_count 0
		.amdhsa_exception_fp_ieee_invalid_op 0
		.amdhsa_exception_fp_denorm_src 0
		.amdhsa_exception_fp_ieee_div_zero 0
		.amdhsa_exception_fp_ieee_overflow 0
		.amdhsa_exception_fp_ieee_underflow 0
		.amdhsa_exception_fp_ieee_inexact 0
		.amdhsa_exception_int_div_zero 0
	.end_amdhsa_kernel
	.section	.text._ZL18flash_attn_ext_vecILi64ELi2EL9ggml_type2ELS0_2ELb1EEvPKcS2_S2_S2_S2_PKiPfP15HIP_vector_typeIfLj2EEffffjfiS6_IjLj3EEiiiiiiiiiiiliiliiiiil,"axG",@progbits,_ZL18flash_attn_ext_vecILi64ELi2EL9ggml_type2ELS0_2ELb1EEvPKcS2_S2_S2_S2_PKiPfP15HIP_vector_typeIfLj2EEffffjfiS6_IjLj3EEiiiiiiiiiiiliiliiiiil,comdat
.Lfunc_end13:
	.size	_ZL18flash_attn_ext_vecILi64ELi2EL9ggml_type2ELS0_2ELb1EEvPKcS2_S2_S2_S2_PKiPfP15HIP_vector_typeIfLj2EEffffjfiS6_IjLj3EEiiiiiiiiiiiliiliiiiil, .Lfunc_end13-_ZL18flash_attn_ext_vecILi64ELi2EL9ggml_type2ELS0_2ELb1EEvPKcS2_S2_S2_S2_PKiPfP15HIP_vector_typeIfLj2EEffffjfiS6_IjLj3EEiiiiiiiiiiiliiliiiiil
                                        ; -- End function
	.set _ZL18flash_attn_ext_vecILi64ELi2EL9ggml_type2ELS0_2ELb1EEvPKcS2_S2_S2_S2_PKiPfP15HIP_vector_typeIfLj2EEffffjfiS6_IjLj3EEiiiiiiiiiiiliiliiiiil.num_vgpr, max(0, .L_ZL14no_device_codePKciS0_iS0_.num_vgpr)
	.set _ZL18flash_attn_ext_vecILi64ELi2EL9ggml_type2ELS0_2ELb1EEvPKcS2_S2_S2_S2_PKiPfP15HIP_vector_typeIfLj2EEffffjfiS6_IjLj3EEiiiiiiiiiiiliiliiiiil.num_agpr, max(0, .L_ZL14no_device_codePKciS0_iS0_.num_agpr)
	.set _ZL18flash_attn_ext_vecILi64ELi2EL9ggml_type2ELS0_2ELb1EEvPKcS2_S2_S2_S2_PKiPfP15HIP_vector_typeIfLj2EEffffjfiS6_IjLj3EEiiiiiiiiiiiliiliiiiil.numbered_sgpr, max(33, .L_ZL14no_device_codePKciS0_iS0_.numbered_sgpr)
	.set _ZL18flash_attn_ext_vecILi64ELi2EL9ggml_type2ELS0_2ELb1EEvPKcS2_S2_S2_S2_PKiPfP15HIP_vector_typeIfLj2EEffffjfiS6_IjLj3EEiiiiiiiiiiiliiliiiiil.num_named_barrier, max(0, .L_ZL14no_device_codePKciS0_iS0_.num_named_barrier)
	.set _ZL18flash_attn_ext_vecILi64ELi2EL9ggml_type2ELS0_2ELb1EEvPKcS2_S2_S2_S2_PKiPfP15HIP_vector_typeIfLj2EEffffjfiS6_IjLj3EEiiiiiiiiiiiliiliiiiil.private_seg_size, 0+max(.L_ZL14no_device_codePKciS0_iS0_.private_seg_size)
	.set _ZL18flash_attn_ext_vecILi64ELi2EL9ggml_type2ELS0_2ELb1EEvPKcS2_S2_S2_S2_PKiPfP15HIP_vector_typeIfLj2EEffffjfiS6_IjLj3EEiiiiiiiiiiiliiliiiiil.uses_vcc, or(1, .L_ZL14no_device_codePKciS0_iS0_.uses_vcc)
	.set _ZL18flash_attn_ext_vecILi64ELi2EL9ggml_type2ELS0_2ELb1EEvPKcS2_S2_S2_S2_PKiPfP15HIP_vector_typeIfLj2EEffffjfiS6_IjLj3EEiiiiiiiiiiiliiliiiiil.uses_flat_scratch, or(0, .L_ZL14no_device_codePKciS0_iS0_.uses_flat_scratch)
	.set _ZL18flash_attn_ext_vecILi64ELi2EL9ggml_type2ELS0_2ELb1EEvPKcS2_S2_S2_S2_PKiPfP15HIP_vector_typeIfLj2EEffffjfiS6_IjLj3EEiiiiiiiiiiiliiliiiiil.has_dyn_sized_stack, or(0, .L_ZL14no_device_codePKciS0_iS0_.has_dyn_sized_stack)
	.set _ZL18flash_attn_ext_vecILi64ELi2EL9ggml_type2ELS0_2ELb1EEvPKcS2_S2_S2_S2_PKiPfP15HIP_vector_typeIfLj2EEffffjfiS6_IjLj3EEiiiiiiiiiiiliiliiiiil.has_recursion, or(0, .L_ZL14no_device_codePKciS0_iS0_.has_recursion)
	.set _ZL18flash_attn_ext_vecILi64ELi2EL9ggml_type2ELS0_2ELb1EEvPKcS2_S2_S2_S2_PKiPfP15HIP_vector_typeIfLj2EEffffjfiS6_IjLj3EEiiiiiiiiiiiliiliiiiil.has_indirect_call, or(0, .L_ZL14no_device_codePKciS0_iS0_.has_indirect_call)
	.section	.AMDGPU.csdata,"",@progbits
; Kernel info:
; codeLenInByte = 48
; TotalNumSgprs: 36
; NumVgprs: 40
; ScratchSize: 16
; MemoryBound: 0
; FloatMode: 240
; IeeeMode: 1
; LDSByteSize: 0 bytes/workgroup (compile time only)
; SGPRBlocks: 0
; VGPRBlocks: 4
; NumSGPRsForWavesPerEU: 36
; NumVGPRsForWavesPerEU: 40
; Occupancy: 16
; WaveLimiterHint : 1
; COMPUTE_PGM_RSRC2:SCRATCH_EN: 1
; COMPUTE_PGM_RSRC2:USER_SGPR: 6
; COMPUTE_PGM_RSRC2:TRAP_HANDLER: 0
; COMPUTE_PGM_RSRC2:TGID_X_EN: 1
; COMPUTE_PGM_RSRC2:TGID_Y_EN: 0
; COMPUTE_PGM_RSRC2:TGID_Z_EN: 0
; COMPUTE_PGM_RSRC2:TIDIG_COMP_CNT: 0
	.section	.text._ZL18flash_attn_ext_vecILi128ELi1EL9ggml_type2ELS0_2ELb0EEvPKcS2_S2_S2_S2_PKiPfP15HIP_vector_typeIfLj2EEffffjfiS6_IjLj3EEiiiiiiiiiiiliiliiiiil,"axG",@progbits,_ZL18flash_attn_ext_vecILi128ELi1EL9ggml_type2ELS0_2ELb0EEvPKcS2_S2_S2_S2_PKiPfP15HIP_vector_typeIfLj2EEffffjfiS6_IjLj3EEiiiiiiiiiiiliiliiiiil,comdat
	.globl	_ZL18flash_attn_ext_vecILi128ELi1EL9ggml_type2ELS0_2ELb0EEvPKcS2_S2_S2_S2_PKiPfP15HIP_vector_typeIfLj2EEffffjfiS6_IjLj3EEiiiiiiiiiiiliiliiiiil ; -- Begin function _ZL18flash_attn_ext_vecILi128ELi1EL9ggml_type2ELS0_2ELb0EEvPKcS2_S2_S2_S2_PKiPfP15HIP_vector_typeIfLj2EEffffjfiS6_IjLj3EEiiiiiiiiiiiliiliiiiil
	.p2align	8
	.type	_ZL18flash_attn_ext_vecILi128ELi1EL9ggml_type2ELS0_2ELb0EEvPKcS2_S2_S2_S2_PKiPfP15HIP_vector_typeIfLj2EEffffjfiS6_IjLj3EEiiiiiiiiiiiliiliiiiil,@function
_ZL18flash_attn_ext_vecILi128ELi1EL9ggml_type2ELS0_2ELb0EEvPKcS2_S2_S2_S2_PKiPfP15HIP_vector_typeIfLj2EEffffjfiS6_IjLj3EEiiiiiiiiiiiliiliiiiil: ; @_ZL18flash_attn_ext_vecILi128ELi1EL9ggml_type2ELS0_2ELb0EEvPKcS2_S2_S2_S2_PKiPfP15HIP_vector_typeIfLj2EEffffjfiS6_IjLj3EEiiiiiiiiiiiliiliiiiil
; %bb.0:
	s_clause 0x3
	s_load_dwordx2 s[28:29], s[4:5], 0x64
	s_load_dwordx2 s[34:35], s[4:5], 0x80
	;; [unrolled: 1-line block ×3, first 2 shown]
	s_load_dwordx4 s[24:27], s[4:5], 0x40
	v_mov_b32_e32 v37, 1.0
	s_waitcnt lgkmcnt(0)
	v_cvt_f32_u32_e32 v2, s29
	s_sub_i32 s1, 0, s29
	v_rcp_iflag_f32_e32 v2, v2
	v_mul_f32_e32 v2, 0x4f7ffffe, v2
	v_cvt_u32_f32_e32 v2, v2
	v_readfirstlane_b32 s0, v2
	s_mul_i32 s1, s1, s0
	s_mul_hi_u32 s1, s0, s1
	s_add_i32 s0, s0, s1
	s_mul_hi_u32 s0, s8, s0
	s_mul_i32 s1, s0, s29
	s_add_i32 s2, s0, 1
	s_sub_i32 s1, s8, s1
	s_sub_i32 s3, s1, s29
	s_cmp_ge_u32 s1, s29
	s_cselect_b32 s0, s2, s0
	s_cselect_b32 s1, s3, s1
	s_add_i32 s2, s0, 1
	s_cmp_ge_u32 s1, s29
	s_cselect_b32 s33, s2, s0
	s_abs_i32 s0, s35
	s_abs_i32 s9, s29
	v_cvt_f32_u32_e32 v2, s0
	s_sub_i32 s2, 0, s0
	s_xor_b32 s3, s29, s35
	s_ashr_i32 s3, s3, 31
	v_rcp_iflag_f32_e32 v2, v2
	v_mul_f32_e32 v2, 0x4f7ffffe, v2
	v_cvt_u32_f32_e32 v2, v2
	v_readfirstlane_b32 s1, v2
	s_mul_i32 s2, s2, s1
	s_mul_hi_u32 s2, s1, s2
	s_add_i32 s1, s1, s2
	s_mul_i32 s2, s33, s29
	s_mul_hi_u32 s1, s9, s1
	s_sub_i32 s30, s8, s2
	s_mul_i32 s10, s1, s0
	s_add_i32 s8, s1, 1
	s_sub_i32 s2, s9, s10
	s_sub_i32 s9, s2, s0
	s_cmp_ge_u32 s2, s0
	s_cselect_b32 s1, s8, s1
	s_cselect_b32 s2, s9, s2
	s_add_i32 s8, s1, 1
	s_cmp_ge_u32 s2, s0
	s_cselect_b32 s0, s8, s1
	s_abs_i32 s40, s36
	s_xor_b32 s0, s0, s3
	v_cvt_f32_u32_e32 v2, s40
	s_sub_i32 s41, s0, s3
	s_load_dword s0, s[4:5], 0x50
	s_abs_i32 s38, s41
	v_cmp_le_f32_e64 s1, s25, 0
	v_cvt_f32_u32_e32 v3, s38
	v_rcp_iflag_f32_e32 v2, v2
	s_sub_i32 s2, 0, s38
	s_abs_i32 s39, s30
	s_and_b32 vcc_lo, exec_lo, s1
	v_rcp_iflag_f32_e32 v3, v3
	s_sub_i32 s1, 0, s40
	s_abs_i32 s35, s33
	v_mul_f32_e32 v2, 0x4f7ffffe, v2
	v_mul_f32_e32 v3, 0x4f7ffffe, v3
	v_cvt_u32_f32_e32 v2, v2
	v_cvt_u32_f32_e32 v3, v3
	v_readfirstlane_b32 s3, v2
	v_readfirstlane_b32 s25, v3
	s_mul_i32 s1, s1, s3
	s_mul_hi_u32 s1, s3, s1
	s_mul_i32 s2, s2, s25
	s_add_i32 s3, s3, s1
	s_mul_hi_u32 s2, s25, s2
	s_add_i32 s25, s25, s2
	s_cbranch_vccnz .LBB14_2
; %bb.1:
	s_waitcnt lgkmcnt(0)
	v_sub_co_u32 v3, vcc_lo, s30, s0
	v_mov_b32_e32 v2, s26
	s_add_i32 s0, s30, 1
	v_lshlrev_b32_e32 v3, 1, v3
	v_cndmask_b32_e32 v2, s27, v2, vcc_lo
	v_or_b32_e32 v3, 1, v3
	v_cndmask_b32_e64 v3, v3, s0, vcc_lo
	v_cmp_neq_f32_e32 vcc_lo, 1.0, v2
	s_mov_b32 s0, 0x3e76c4e1
	v_cvt_f32_i32_e32 v3, v3
	v_cndmask_b32_e32 v4, 1.0, v3, vcc_lo
	v_cmp_neq_f32_e32 vcc_lo, 0, v4
	v_cndmask_b32_e32 v5, 1.0, v2, vcc_lo
	v_frexp_mant_f32_e64 v2, |v5|
	v_cmp_eq_f32_e64 s2, 0, v5
	v_cmp_gt_f32_e32 vcc_lo, 0x3f2aaaab, v2
	v_cndmask_b32_e64 v3, 1.0, 2.0, vcc_lo
	v_mul_f32_e32 v2, v2, v3
	v_add_f32_e32 v3, 1.0, v2
	v_add_f32_e32 v7, -1.0, v2
	v_rcp_f32_e32 v6, v3
	v_add_f32_e32 v9, -1.0, v3
	v_sub_f32_e32 v2, v2, v9
	v_mul_f32_e32 v8, v7, v6
	v_mul_f32_e32 v10, v3, v8
	v_fma_f32 v3, v8, v3, -v10
	v_fmac_f32_e32 v3, v8, v2
	v_add_f32_e32 v2, v10, v3
	v_sub_f32_e32 v9, v7, v2
	v_sub_f32_e32 v10, v2, v10
	;; [unrolled: 1-line block ×5, first 2 shown]
	v_add_f32_e32 v2, v3, v2
	v_add_f32_e32 v2, v9, v2
	v_mul_f32_e32 v2, v6, v2
	v_add_f32_e32 v6, v8, v2
	v_sub_f32_e32 v3, v6, v8
	v_mul_f32_e32 v7, v6, v6
	v_sub_f32_e32 v8, v2, v3
	v_fma_f32 v2, v6, v6, -v7
	v_add_f32_e32 v3, v8, v8
	v_fmac_f32_e32 v2, v6, v3
	v_add_f32_e32 v9, v7, v2
	v_fmaak_f32 v3, s0, v9, 0x3e91f4c4
	v_sub_f32_e32 v7, v9, v7
	v_mul_f32_e32 v14, v6, v9
	v_fmaak_f32 v3, v9, v3, 0x3ecccdef
	v_sub_f32_e32 v7, v2, v7
	v_fma_f32 v15, v9, v6, -v14
	v_mul_f32_e32 v10, v9, v3
	v_fmac_f32_e32 v15, v9, v8
	v_ldexp_f32 v8, v8, 1
	v_fma_f32 v11, v9, v3, -v10
	v_fmac_f32_e32 v15, v7, v6
	v_fmac_f32_e32 v11, v7, v3
	v_cvt_f64_f32_e64 v[2:3], |v5|
	v_add_f32_e32 v12, v10, v11
	v_sub_f32_e32 v10, v12, v10
	v_add_f32_e32 v13, 0x3f2aaaaa, v12
	v_sub_f32_e32 v10, v11, v10
	v_add_f32_e32 v11, 0xbf2aaaaa, v13
	v_add_f32_e32 v10, 0x31739010, v10
	v_sub_f32_e32 v11, v12, v11
	v_frexp_exp_i32_f64_e32 v2, v[2:3]
	v_add_f32_e32 v9, v10, v11
	v_add_f32_e32 v10, v14, v15
	;; [unrolled: 1-line block ×3, first 2 shown]
	v_sub_f32_e32 v12, v10, v14
	v_sub_f32_e32 v3, v13, v7
	v_mul_f32_e32 v11, v10, v7
	v_sub_f32_e32 v12, v15, v12
	v_add_f32_e32 v3, v9, v3
	v_fma_f32 v9, v10, v7, -v11
	v_subrev_co_ci_u32_e64 v2, null, 0, v2, vcc_lo
	v_fmac_f32_e32 v9, v10, v3
	v_ldexp_f32 v3, v6, 1
	v_cvt_f32_i32_e32 v2, v2
	v_fmac_f32_e32 v9, v12, v7
	v_add_f32_e32 v6, v11, v9
	v_add_f32_e32 v7, v3, v6
	v_sub_f32_e32 v10, v6, v11
	v_mul_f32_e32 v11, 0x3f317218, v2
	v_sub_f32_e32 v3, v7, v3
	v_sub_f32_e32 v9, v9, v10
	v_fma_f32 v10, 0x3f317218, v2, -v11
	v_sub_f32_e32 v3, v6, v3
	v_add_f32_e32 v6, v8, v9
	v_fmamk_f32 v2, v2, 0xb102e308, v10
	v_add_f32_e32 v3, v6, v3
	v_add_f32_e32 v6, v11, v2
	;; [unrolled: 1-line block ×3, first 2 shown]
	v_sub_f32_e32 v11, v6, v11
	v_add_f32_e32 v9, v6, v8
	v_sub_f32_e32 v7, v8, v7
	v_sub_f32_e32 v2, v2, v11
	;; [unrolled: 1-line block ×6, first 2 shown]
	v_add_f32_e32 v8, v2, v3
	v_sub_f32_e32 v6, v6, v12
	v_add_f32_e32 v6, v7, v6
	v_sub_f32_e32 v7, v8, v2
	;; [unrolled: 2-line block ×3, first 2 shown]
	v_sub_f32_e32 v3, v3, v7
	v_add_f32_e32 v10, v9, v6
	v_sub_f32_e32 v2, v2, v8
	v_sub_f32_e32 v7, v10, v9
	v_add_f32_e32 v2, v3, v2
	v_sub_f32_e32 v3, v6, v7
	v_add_f32_e32 v2, v2, v3
	v_add_f32_e32 v3, v10, v2
	v_sub_f32_e32 v6, v3, v10
	v_mul_f32_e32 v7, v4, v3
	v_sub_f32_e32 v2, v2, v6
	v_fma_f32 v3, v4, v3, -v7
	v_cmp_class_f32_e64 vcc_lo, v7, 0x204
	v_fmac_f32_e32 v3, v4, v2
	v_add_f32_e32 v2, v7, v3
	v_cndmask_b32_e32 v6, v2, v7, vcc_lo
	v_sub_f32_e32 v2, v2, v7
	v_cmp_eq_f32_e32 vcc_lo, 0x42b17218, v6
	v_sub_f32_e32 v2, v3, v2
	v_cndmask_b32_e64 v8, 0, 0x37000000, vcc_lo
	v_cmp_neq_f32_e64 vcc_lo, 0x7f800000, |v6|
	v_sub_f32_e32 v9, v6, v8
	v_cndmask_b32_e32 v2, 0, v2, vcc_lo
	v_trunc_f32_e32 v6, v4
	v_mul_f32_e32 v10, 0x3fb8aa3b, v9
	v_cmp_ngt_f32_e32 vcc_lo, 0xc2ce8ed0, v9
	v_add_f32_e32 v2, v8, v2
	v_fma_f32 v11, 0x3fb8aa3b, v9, -v10
	v_rndne_f32_e32 v12, v10
	v_fmamk_f32 v11, v9, 0x32a5705f, v11
	v_sub_f32_e32 v10, v10, v12
	v_cvt_i32_f32_e32 v7, v12
	v_add_f32_e32 v10, v10, v11
	v_exp_f32_e32 v10, v10
	v_ldexp_f32 v3, v10, v7
	v_mul_f32_e32 v7, 0.5, v4
	v_cndmask_b32_e32 v3, 0, v3, vcc_lo
	v_cmp_nlt_f32_e32 vcc_lo, 0x42b17218, v9
	v_trunc_f32_e32 v10, v7
	v_cndmask_b32_e32 v3, 0x7f800000, v3, vcc_lo
	v_cmp_eq_f32_e32 vcc_lo, v6, v4
	v_cmp_neq_f32_e64 s0, v10, v7
	v_fma_f32 v2, v3, v2, v3
	v_cmp_class_f32_e64 s1, v3, 0x204
	s_and_b32 s0, vcc_lo, s0
	v_cndmask_b32_e64 v6, 1.0, v5, s0
	v_cndmask_b32_e64 v2, v2, v3, s1
	v_cmp_gt_f32_e64 s1, 0, v4
	v_bfi_b32 v2, 0x7fffffff, v2, v6
	s_xor_b32 s1, s1, s2
	v_cndmask_b32_e64 v6, 0, v5, s0
	v_cndmask_b32_e64 v3, 0x7f800000, 0, s1
	v_cmp_class_f32_e64 s0, v5, 0x204
	v_cndmask_b32_e32 v4, 0x7fc00000, v2, vcc_lo
	v_cmp_gt_f32_e32 vcc_lo, 0, v5
	v_bfi_b32 v3, 0x7fffffff, v3, v6
	v_cndmask_b32_e32 v2, v2, v4, vcc_lo
	s_or_b32 vcc_lo, s2, s0
	v_cndmask_b32_e32 v2, v2, v3, vcc_lo
	v_cmp_o_f32_e32 vcc_lo, v5, v5
	v_cndmask_b32_e32 v37, 0x7fc00000, v2, vcc_lo
.LBB14_2:
	s_load_dwordx16 s[8:23], s[4:5], 0x0
	s_waitcnt lgkmcnt(0)
	v_cmp_eq_u32_e64 s0, 0, v1
	v_mbcnt_lo_u32_b32 v36, -1, 0
	s_mul_hi_u32 s42, s39, s25
	s_mul_hi_u32 s36, s35, s3
	s_and_saveexec_b32 s25, s0
	s_cbranch_execz .LBB14_7
; %bb.3:
	s_load_dwordx4 s[44:47], s[4:5], 0x70
	v_lshlrev_b32_e32 v2, 4, v0
	v_xor_b32_e32 v13, 1, v36
	s_waitcnt lgkmcnt(0)
	s_mul_i32 s1, s33, s46
	s_mul_i32 s2, s44, s6
	;; [unrolled: 1-line block ×3, first 2 shown]
	s_add_i32 s1, s1, s2
	s_add_i32 s1, s1, s3
	s_ashr_i32 s3, s1, 31
	s_add_u32 s2, s8, s1
	s_addc_u32 s3, s9, s3
	s_mov_b32 s8, exec_lo
	global_load_dwordx4 v[9:12], v2, s[2:3]
	v_xor_b32_e32 v2, 4, v36
	v_cmp_gt_i32_e32 vcc_lo, 32, v2
	v_cndmask_b32_e32 v2, v36, v2, vcc_lo
	v_lshlrev_b32_e32 v2, 2, v2
	s_waitcnt vmcnt(0)
	v_mul_f32_e32 v4, s24, v9
	v_mul_f32_e32 v6, s24, v10
	;; [unrolled: 1-line block ×4, first 2 shown]
	v_xor_b32_e32 v10, 2, v36
	v_max_f32_e64 v3, |v4|, |v6|
	v_fma_f32 v9, s24, v9, v6
	v_cmp_gt_i32_e32 vcc_lo, 32, v10
	v_max3_f32 v3, v3, |v8|, |v7|
	v_fmac_f32_e32 v9, s24, v11
	v_cndmask_b32_e32 v10, v36, v10, vcc_lo
	v_cmp_gt_i32_e32 vcc_lo, 32, v13
	ds_bpermute_b32 v5, v2, v3
	v_fmac_f32_e32 v9, s24, v12
	v_lshlrev_b32_e32 v10, 2, v10
	v_cndmask_b32_e32 v13, v36, v13, vcc_lo
	ds_bpermute_b32 v2, v2, v9
	v_lshlrev_b32_e32 v13, 2, v13
	s_waitcnt lgkmcnt(1)
	v_max_f32_e32 v5, v5, v5
	v_max_f32_e32 v3, v3, v5
	s_waitcnt lgkmcnt(0)
	v_add_f32_e32 v2, v9, v2
	ds_bpermute_b32 v5, v10, v3
	s_waitcnt lgkmcnt(0)
	v_max_f32_e32 v5, v5, v5
	v_max_f32_e32 v3, v3, v5
	ds_bpermute_b32 v5, v13, v3
	s_waitcnt lgkmcnt(0)
	v_max_f32_e32 v5, v5, v5
	v_max_f32_e32 v11, v3, v5
	ds_bpermute_b32 v5, v10, v2
	v_div_scale_f32 v12, null, 0x42fe0000, 0x42fe0000, v11
	v_div_scale_f32 v9, vcc_lo, v11, 0x42fe0000, v11
	v_rcp_f32_e32 v14, v12
	v_fma_f32 v3, -v12, v14, 1.0
	v_fmac_f32_e32 v14, v3, v14
	s_waitcnt lgkmcnt(0)
	v_add_f32_e32 v3, v2, v5
	v_mul_f32_e32 v10, v9, v14
	ds_bpermute_b32 v5, v13, v3
	v_fma_f32 v15, -v12, v10, v9
	v_fmac_f32_e32 v10, v15, v14
	v_fma_f32 v2, -v12, v10, v9
	v_mov_b32_e32 v9, 0
	v_div_fmas_f32 v2, v2, v14, v10
	v_div_fixup_f32 v2, v2, 0x42fe0000, v11
	v_cmpx_neq_f32_e32 0, v2
	s_cbranch_execz .LBB14_5
; %bb.4:
	v_div_scale_f32 v9, null, v2, v2, v4
	v_div_scale_f32 v10, null, v2, v2, v6
	;; [unrolled: 1-line block ×3, first 2 shown]
	v_rcp_f32_e32 v11, v9
	v_div_scale_f32 v13, null, v2, v2, v7
	v_rcp_f32_e32 v14, v10
	v_rcp_f32_e32 v15, v12
	v_div_scale_f32 v19, vcc_lo, v4, v2, v4
	v_rcp_f32_e32 v16, v13
	v_fma_f32 v17, -v9, v11, 1.0
	v_fma_f32 v18, -v10, v14, 1.0
	;; [unrolled: 1-line block ×3, first 2 shown]
	v_fmac_f32_e32 v11, v17, v11
	v_div_scale_f32 v17, s1, v6, v2, v6
	v_fma_f32 v21, -v13, v16, 1.0
	v_fmac_f32_e32 v14, v18, v14
	v_fmac_f32_e32 v15, v20, v15
	v_div_scale_f32 v18, s2, v8, v2, v8
	v_fmac_f32_e32 v16, v21, v16
	v_mul_f32_e32 v21, v19, v11
	v_mul_f32_e32 v22, v17, v14
	;; [unrolled: 1-line block ×3, first 2 shown]
	v_div_scale_f32 v20, s3, v7, v2, v7
	v_fma_f32 v25, -v9, v21, v19
	v_fma_f32 v26, -v10, v22, v17
	;; [unrolled: 1-line block ×3, first 2 shown]
	v_mul_f32_e32 v24, v20, v16
	v_fmac_f32_e32 v21, v25, v11
	v_fmac_f32_e32 v22, v26, v14
	;; [unrolled: 1-line block ×3, first 2 shown]
	v_fma_f32 v28, -v13, v24, v20
	v_fma_f32 v9, -v9, v21, v19
	;; [unrolled: 1-line block ×4, first 2 shown]
	v_fmac_f32_e32 v24, v28, v16
	v_div_fmas_f32 v9, v9, v11, v21
	s_mov_b32 vcc_lo, s1
	v_div_fmas_f32 v10, v10, v14, v22
	s_mov_b32 vcc_lo, s2
	v_div_fixup_f32 v4, v9, v2, v4
	v_div_fmas_f32 v11, v12, v15, v23
	v_fma_f32 v12, -v13, v24, v20
	s_mov_b32 vcc_lo, s3
	v_div_fixup_f32 v6, v10, v2, v6
	v_div_fixup_f32 v8, v11, v2, v8
	v_div_fmas_f32 v11, v12, v16, v24
	v_trunc_f32_e32 v10, v6
	v_trunc_f32_e32 v12, v8
	v_div_fixup_f32 v7, v11, v2, v7
	v_trunc_f32_e32 v11, v4
	v_sub_f32_e32 v14, v6, v10
	v_sub_f32_e32 v9, v8, v12
	v_trunc_f32_e32 v13, v7
	v_sub_f32_e32 v16, v4, v11
	v_cmp_ge_f32_e64 s1, |v9|, 0.5
	v_sub_f32_e32 v15, v7, v13
	v_cndmask_b32_e64 v9, 0, 1.0, s1
	v_cmp_ge_f32_e64 s1, |v14|, 0.5
	v_bfi_b32 v8, 0x7fffffff, v9, v8
	v_cndmask_b32_e64 v9, 0, 1.0, s1
	v_cmp_ge_f32_e64 s1, |v15|, 0.5
	v_add_f32_e32 v8, v12, v8
	v_bfi_b32 v6, 0x7fffffff, v9, v6
	v_cndmask_b32_e64 v14, 0, 1.0, s1
	v_cmp_ge_f32_e64 s1, |v16|, 0.5
	v_mov_b32_e32 v9, 8
	v_cvt_i32_f32_e32 v8, v8
	v_add_f32_e32 v6, v10, v6
	v_bfi_b32 v7, 0x7fffffff, v14, v7
	v_cndmask_b32_e64 v12, 0, 1.0, s1
	v_and_b32_e32 v8, 0xff, v8
	v_cvt_i32_f32_e32 v6, v6
	v_add_f32_e32 v7, v13, v7
	v_bfi_b32 v4, 0x7fffffff, v12, v4
	v_lshlrev_b32_e32 v8, 16, v8
	v_lshlrev_b32_sdwa v6, v9, v6 dst_sel:DWORD dst_unused:UNUSED_PAD src0_sel:DWORD src1_sel:BYTE_0
	v_cvt_i32_f32_e32 v7, v7
	v_add_f32_e32 v4, v11, v4
	v_lshl_or_b32 v7, v7, 24, v8
	v_cvt_i32_f32_e32 v4, v4
	v_and_b32_e32 v4, 0xff, v4
	v_or3_b32 v9, v7, v6, v4
.LBB14_5:
	s_or_b32 exec_lo, exec_lo, s8
	v_and_b32_e32 v4, 7, v0
	v_lshlrev_b32_e32 v6, 2, v0
	v_cmp_eq_u32_e32 vcc_lo, 0, v4
	ds_write_b32 v6, v9
	s_and_b32 exec_lo, exec_lo, vcc_lo
	s_cbranch_execz .LBB14_7
; %bb.6:
	s_waitcnt lgkmcnt(1)
	v_add_f32_e32 v3, v3, v5
	ds_write_b64 v0, v[2:3] offset:128
.LBB14_7:
	s_or_b32 exec_lo, exec_lo, s25
	v_and_b32_e32 v12, 1, v0
	v_mov_b32_e32 v41, 0
	s_waitcnt lgkmcnt(0)
	s_barrier
	buffer_gl0_inv
	v_lshlrev_b32_e32 v10, 2, v12
	s_ashr_i32 s31, s30, 31
	s_ashr_i32 s1, s41, 31
	;; [unrolled: 1-line block ×3, first 2 shown]
	s_cmp_eq_u64 s[18:19], 0
	ds_read2_b32 v[18:19], v10 offset1:2
	ds_read2_b32 v[20:21], v10 offset0:4 offset1:6
	ds_read2_b32 v[22:23], v10 offset0:8 offset1:10
	;; [unrolled: 1-line block ×3, first 2 shown]
	ds_read_b128 v[2:5], v41 offset:128
	ds_read_b128 v[6:9], v41 offset:144
	ds_read2_b32 v[26:27], v10 offset0:16 offset1:18
	ds_read2_b32 v[28:29], v10 offset0:20 offset1:22
	;; [unrolled: 1-line block ×4, first 2 shown]
	s_waitcnt lgkmcnt(0)
	s_barrier
	buffer_gl0_inv
	s_cbranch_scc1 .LBB14_9
; %bb.8:
	s_load_dword s2, s[4:5], 0xd0
	s_mov_b32 s3, 0
	s_waitcnt lgkmcnt(0)
	s_mul_i32 s2, s2, s33
	s_add_i32 s2, s2, s6
	s_lshl_b64 s[2:3], s[2:3], 2
	s_add_u32 s2, s18, s2
	s_addc_u32 s3, s19, s3
	s_load_dword s34, s[2:3], 0x0
.LBB14_9:
	v_lshlrev_b32_e32 v11, 5, v1
	v_lshlrev_b32_e32 v40, 2, v0
	s_lshl_b32 s2, s7, 7
	s_mov_b32 s3, 0
	s_waitcnt lgkmcnt(0)
	s_cmp_ge_i32 s2, s34
	v_add_nc_u32_e32 v38, v11, v0
	v_lshlrev_b32_e32 v39, 1, v38
	s_cbranch_scc1 .LBB14_17
; %bb.10:
	s_clause 0x1
	s_load_dwordx4 s[24:27], s[4:5], 0x98
	s_load_dwordx2 s[18:19], s[4:5], 0x8c
	s_mul_i32 s44, s42, s38
	s_xor_b32 s41, s31, s1
	s_sub_i32 s39, s39, s44
	s_add_i32 s45, s42, 1
	s_mul_i32 s46, s36, s40
	s_mul_i32 s47, s37, s6
	s_clause 0x2
	s_load_dwordx2 s[36:37], s[4:5], 0xa8
	s_load_dwordx2 s[8:9], s[4:5], 0xc8
	s_load_dword s48, s[4:5], 0xd4
	v_and_b32_e32 v13, 0x7e, v0
	v_bfe_u32 v15, v0, 3, 27
	v_cmp_eq_u32_e64 s1, 0, v12
	v_and_b32_e32 v41, 12, v40
	v_add_nc_u32_e32 v68, 29, v11
	v_add_nc_u32_e32 v12, v11, v13
	v_mul_hi_u32_u24_e32 v14, 18, v15
	v_mul_u32_u24_e32 v13, 18, v15
	v_add_nc_u32_e32 v57, 28, v11
	v_add_nc_u32_e32 v61, 27, v11
	v_lshlrev_b32_e32 v34, 1, v12
	s_waitcnt lgkmcnt(0)
	s_mul_hi_u32 s44, s24, s33
	s_mul_i32 s49, s24, s43
	s_mul_i32 s25, s25, s33
	s_add_i32 s44, s44, s49
	s_sub_i32 s49, s39, s38
	s_add_i32 s25, s44, s25
	s_cmp_ge_u32 s39, s38
	v_mad_u64_u32 v[16:17], null, s36, s33, v[13:14]
	s_cselect_b32 s42, s45, s42
	s_cselect_b32 s39, s49, s39
	s_add_i32 s44, s42, 1
	s_cmp_ge_u32 s39, s38
	v_mul_lo_u32 v42, v11, s26
	s_cselect_b32 s38, s44, s42
	s_sub_i32 s42, s35, s46
	s_xor_b32 s38, s38, s41
	s_mul_i32 s36, s36, s43
	s_sub_i32 s38, s38, s41
	s_sub_i32 s41, s42, s40
	s_mul_i32 s35, s38, s19
	s_mul_i32 s38, s38, s27
	s_ashr_i32 s27, s35, 31
	s_ashr_i32 s39, s38, 31
	s_cmp_ge_u32 s42, s40
	v_add_nc_u32_e32 v43, s26, v42
	s_cselect_b32 s19, s41, s42
	v_ashrrev_i32_e32 v44, 31, v42
	s_sub_i32 s41, s19, s40
	s_cmp_ge_u32 s19, s40
	v_add_nc_u32_e32 v15, s26, v43
	s_cselect_b32 s19, s41, s19
	s_ashr_i32 s42, s47, 31
	s_xor_b32 s19, s19, s43
	v_ashrrev_i32_e32 v45, 31, v43
	s_sub_i32 s19, s19, s43
	v_add_nc_u32_e32 v48, s26, v15
	s_ashr_i32 s40, s19, 31
	s_mul_hi_u32 s41, s8, s19
	s_mul_i32 s40, s8, s40
	s_mul_i32 s9, s9, s19
	s_add_i32 s40, s41, s40
	s_mul_i32 s46, s8, s19
	s_add_i32 s9, s40, s9
	s_cmp_lg_u64 s[14:15], 0
	v_mul_lo_u32 v57, s26, v57
	s_cselect_b32 s19, -1, 0
	s_lshl_b32 s8, s48, 7
	s_add_u32 s40, s10, s35
	s_addc_u32 s41, s11, s27
	s_lshl_b64 s[44:45], s[2:3], 1
	v_add_nc_u32_e32 v69, 26, v11
	s_add_u32 s44, s46, s44
	s_addc_u32 s9, s9, s45
	s_add_u32 s14, s14, s47
	s_addc_u32 s15, s15, s42
	;; [unrolled: 2-line block ×3, first 2 shown]
	v_add_co_u32 v13, s14, s14, v34
	s_mul_i32 s15, s37, s33
	v_add_co_ci_u32_e64 v14, null, s9, 0, s14
	v_add3_u32 v17, s36, s15, v17
	v_add_co_u32 v34, vcc_lo, v13, 2
	v_add_co_ci_u32_e64 v35, null, 0, v14, vcc_lo
	v_add_co_u32 v46, vcc_lo, v16, v41
	v_add_co_ci_u32_e64 v47, null, 0, v17, vcc_lo
	;; [unrolled: 2-line block ×5, first 2 shown]
	v_add_nc_u32_e32 v16, 31, v11
	v_add_co_u32 v41, vcc_lo, v44, v43
	v_add_nc_u32_e32 v42, s26, v48
	v_add_co_ci_u32_e64 v59, null, v49, v45, vcc_lo
	v_mul_lo_u32 v16, s26, v16
	v_add_co_u32 v46, vcc_lo, v46, s38
	v_add_co_ci_u32_e64 v47, null, s39, v47, vcc_lo
	v_add_nc_u32_e32 v17, 30, v11
	v_add_nc_u32_e32 v50, s26, v42
	v_add_co_u32 v58, vcc_lo, v46, v43
	v_add_co_ci_u32_e64 v60, null, v47, v45, vcc_lo
	v_mul_lo_u32 v45, s26, v17
	v_ashrrev_i32_e32 v43, 31, v16
	v_add_nc_u32_e32 v51, s26, v50
	v_add_co_u32 v62, vcc_lo, v46, v16
	v_mul_lo_u32 v61, s26, v61
	v_add_co_ci_u32_e64 v63, null, v47, v43, vcc_lo
	v_add_co_u32 v16, vcc_lo, v44, v16
	v_add_nc_u32_e32 v52, s26, v51
	v_add_co_ci_u32_e64 v17, null, v49, v43, vcc_lo
	v_ashrrev_i32_e32 v43, 31, v45
	v_add_co_u32 v66, vcc_lo, v46, v45
	v_add_nc_u32_e32 v53, s26, v52
	v_add_nc_u32_e32 v73, 25, v11
	v_add_co_ci_u32_e64 v67, null, v47, v43, vcc_lo
	v_add_co_u32 v71, vcc_lo, v44, v45
	v_add_co_ci_u32_e64 v72, null, v49, v43, vcc_lo
	v_mul_lo_u32 v43, s26, v68
	v_add_nc_u32_e32 v56, s26, v53
	v_mul_lo_u32 v45, s26, v69
	v_ashrrev_i32_e32 v69, 31, v57
	v_add_nc_u32_e32 v75, 24, v11
	v_ashrrev_i32_e32 v74, 31, v61
	v_add_nc_u32_e32 v64, s26, v56
	v_mul_lo_u32 v73, s26, v73
	v_ashrrev_i32_e32 v110, 31, v43
	v_add_co_u32 v112, vcc_lo, v46, v43
	v_add_nc_u32_e32 v65, s26, v64
	v_add_nc_u32_e32 v77, 23, v11
	v_add_co_ci_u32_e64 v113, null, v47, v110, vcc_lo
	v_add_co_u32 v114, vcc_lo, v44, v43
	v_add_co_ci_u32_e64 v110, null, v49, v110, vcc_lo
	v_add_co_u32 v115, vcc_lo, v46, v57
	v_add_nc_u32_e32 v70, s26, v65
	v_add_co_ci_u32_e64 v116, null, v47, v69, vcc_lo
	v_add_co_u32 v117, vcc_lo, v44, v57
	v_add_co_ci_u32_e64 v118, null, v49, v69, vcc_lo
	v_add_co_u32 v119, vcc_lo, v46, v61
	v_ashrrev_i32_e32 v78, 31, v45
	v_mul_lo_u32 v75, s26, v75
	v_add_co_ci_u32_e64 v120, null, v47, v74, vcc_lo
	v_add_co_u32 v121, vcc_lo, v44, v61
	v_add_nc_u32_e32 v68, s26, v70
	v_add_nc_u32_e32 v80, 22, v11
	v_add_co_ci_u32_e64 v122, null, v49, v74, vcc_lo
	v_add_co_u32 v123, vcc_lo, v46, v45
	v_mul_lo_u32 v77, s26, v77
	v_ashrrev_i32_e32 v86, 31, v73
	v_add_co_ci_u32_e64 v124, null, v47, v78, vcc_lo
	v_add_co_u32 v125, vcc_lo, v44, v45
	v_add_nc_u32_e32 v76, s26, v68
	v_add_nc_u32_e32 v81, 21, v11
	v_add_co_ci_u32_e64 v126, null, v49, v78, vcc_lo
	v_add_co_u32 v127, vcc_lo, v46, v73
	v_mul_lo_u32 v80, s26, v80
	v_ashrrev_i32_e32 v87, 31, v75
	v_add_co_ci_u32_e64 v128, null, v47, v86, vcc_lo
	v_add_co_u32 v129, vcc_lo, v44, v73
	v_add_nc_u32_e32 v82, 20, v11
	v_add_co_ci_u32_e64 v130, null, v49, v86, vcc_lo
	v_add_co_u32 v131, vcc_lo, v46, v75
	v_add_nc_u32_e32 v79, s26, v76
	v_mul_lo_u32 v81, s26, v81
	v_ashrrev_i32_e32 v88, 31, v77
	v_add_co_ci_u32_e64 v132, null, v47, v87, vcc_lo
	v_add_co_u32 v133, vcc_lo, v44, v75
	v_add_nc_u32_e32 v84, 19, v11
	v_add_co_ci_u32_e64 v134, null, v49, v87, vcc_lo
	v_add_co_u32 v135, vcc_lo, v46, v77
	v_mul_lo_u32 v82, s26, v82
	v_ashrrev_i32_e32 v90, 31, v80
	v_add_nc_u32_e32 v83, s26, v79
	v_add_co_ci_u32_e64 v136, null, v47, v88, vcc_lo
	v_add_co_u32 v137, vcc_lo, v44, v77
	v_add_co_ci_u32_e64 v138, null, v49, v88, vcc_lo
	v_add_co_u32 v139, vcc_lo, v46, v80
	v_mul_lo_u32 v84, s26, v84
	v_ashrrev_i32_e32 v91, 31, v81
	v_add_co_ci_u32_e64 v140, null, v47, v90, vcc_lo
	v_add_co_u32 v141, vcc_lo, v44, v80
	v_add_nc_u32_e32 v85, s26, v83
	v_add_co_ci_u32_e64 v142, null, v49, v90, vcc_lo
	v_add_co_u32 v143, vcc_lo, v46, v81
	v_ashrrev_i32_e32 v92, 31, v82
	v_add_co_ci_u32_e64 v144, null, v47, v91, vcc_lo
	v_add_co_u32 v145, vcc_lo, v44, v81
	v_add_nc_u32_e32 v89, s26, v85
	v_add_co_ci_u32_e64 v146, null, v49, v91, vcc_lo
	v_add_co_u32 v147, vcc_lo, v46, v82
	v_ashrrev_i32_e32 v93, 31, v84
	v_add_co_ci_u32_e64 v148, null, v47, v92, vcc_lo
	v_add_co_u32 v149, vcc_lo, v44, v82
	v_add_co_ci_u32_e64 v150, null, v49, v92, vcc_lo
	v_add_co_u32 v151, vcc_lo, v46, v84
	v_ashrrev_i32_e32 v94, 31, v89
	v_add_co_ci_u32_e64 v152, null, v47, v93, vcc_lo
	v_add_co_u32 v153, vcc_lo, v44, v84
	;; [unrolled: 5-line block ×16, first 2 shown]
	v_add_co_ci_u32_e64 v210, null, v49, v107, vcc_lo
	v_add_co_u32 v211, vcc_lo, v46, v42
	v_add_co_ci_u32_e64 v212, null, v47, v108, vcc_lo
	v_add_co_u32 v213, vcc_lo, v44, v42
	v_and_b32_e32 v42, 30, v36
	v_ashrrev_i32_e32 v109, 31, v48
	v_add_co_ci_u32_e64 v214, null, v49, v108, vcc_lo
	v_add_co_u32 v215, vcc_lo, v46, v48
	v_ashrrev_i32_e32 v111, 31, v15
	v_add_nc_u32_e32 v42, 2, v42
	v_xor_b32_e32 v43, 1, v36
	v_add_co_ci_u32_e64 v216, null, v47, v109, vcc_lo
	v_add_co_u32 v217, vcc_lo, v44, v48
	v_add_co_ci_u32_e64 v218, null, v49, v109, vcc_lo
	v_add_co_u32 v219, vcc_lo, v46, v15
	v_add_co_ci_u32_e64 v220, null, v47, v111, vcc_lo
	v_cmp_lt_i32_e32 vcc_lo, v43, v42
	v_mul_lo_u32 v12, v12, s18
	v_xor_b32_e32 v45, 8, v36
	v_xor_b32_e32 v46, 16, v36
	s_mul_i32 s36, s24, s33
	v_cndmask_b32_e32 v42, v36, v43, vcc_lo
	v_xor_b32_e32 v43, 2, v36
	v_add_co_u32 v15, vcc_lo, v44, v15
	v_add_co_ci_u32_e64 v221, null, v49, v111, vcc_lo
	v_xor_b32_e32 v44, 4, v36
	v_cmp_gt_i32_e32 vcc_lo, 32, v43
	v_add_nc_u32_e32 v52, s18, v12
	s_mov_b32 s9, s3
	v_add_co_u32 v10, s3, s36, v10
	v_cndmask_b32_e32 v43, v36, v43, vcc_lo
	v_cmp_gt_i32_e32 vcc_lo, 32, v44
	v_ashrrev_i32_e32 v53, 31, v52
	v_add_co_ci_u32_e64 v56, null, s25, 0, s3
	s_lshl_b64 s[14:15], s[8:9], 1
	v_cndmask_b32_e32 v44, v36, v44, vcc_lo
	v_cmp_gt_i32_e32 vcc_lo, 32, v45
	s_add_u32 s3, s12, s38
	s_addc_u32 s9, s13, s39
	s_add_u32 s37, s40, s36
	v_lshlrev_b32_e32 v47, 1, v11
	v_cndmask_b32_e32 v45, v36, v45, vcc_lo
	v_cmp_gt_i32_e32 vcc_lo, 32, v46
	s_addc_u32 s38, s41, s25
	v_lshlrev_b32_e32 v42, 2, v42
	v_lshlrev_b32_e32 v43, 2, v43
	v_lshlrev_b32_e32 v44, 2, v44
	v_cndmask_b32_e32 v46, v36, v46, vcc_lo
	v_add_co_u32 v48, vcc_lo, v10, v52
	v_add_co_ci_u32_e64 v49, null, v56, v53, vcc_lo
	v_lshlrev_b32_e32 v45, 2, v45
	v_add_co_u32 v48, vcc_lo, s40, v48
	v_add_co_ci_u32_e64 v49, null, s41, v49, vcc_lo
	v_add_co_u32 v50, vcc_lo, s3, v13
	v_add_co_ci_u32_e64 v51, null, s9, v14, vcc_lo
	;; [unrolled: 2-line block ×3, first 2 shown]
	v_ashrrev_i32_e32 v13, 31, v12
	v_add_co_u32 v52, vcc_lo, s37, v52
	v_add_co_ci_u32_e64 v53, null, s38, v53, vcc_lo
	v_add_co_u32 v10, vcc_lo, v10, v12
	v_add_co_ci_u32_e64 v11, null, v11, v13, vcc_lo
	;; [unrolled: 2-line block ×6, first 2 shown]
	v_add_co_u32 v58, vcc_lo, s12, v41
	s_add_u32 s3, s36, s35
	s_addc_u32 s9, s25, s27
	v_add_co_ci_u32_e64 v59, null, s13, v59, vcc_lo
	v_add_co_u32 v60, vcc_lo, v10, 2
	s_add_u32 s3, s10, s3
	v_add_co_ci_u32_e64 v61, null, 0, v11, vcc_lo
	s_addc_u32 s9, s11, s9
	v_add_co_u32 v10, vcc_lo, s3, v12
	v_add_co_ci_u32_e64 v11, null, s9, v13, vcc_lo
	v_add_co_u32 v12, vcc_lo, s12, v62
	v_add_co_ci_u32_e64 v13, null, s13, v63, vcc_lo
	;; [unrolled: 2-line block ×91, first 2 shown]
	v_add_co_u32 v182, vcc_lo, s12, v15
	v_lshlrev_b32_e32 v46, 2, v46
	v_add_co_ci_u32_e64 v183, null, s13, v221, vcc_lo
	v_mov_b32_e32 v41, 0
	v_and_b32_e32 v184, 4, v0
	v_mov_b32_e32 v10, 0xfeffffff
	v_mov_b32_e32 v14, 0
	;; [unrolled: 1-line block ×4, first 2 shown]
	s_mul_i32 s24, s26, s2
	s_mul_i32 s3, s18, s2
	;; [unrolled: 1-line block ×4, first 2 shown]
.LBB14_11:                              ; =>This Inner Loop Header: Depth=1
	v_add_co_u32 v11, vcc_lo, v62, s3
	v_add_co_ci_u32_e64 v12, null, 0, v63, vcc_lo
	v_add_co_u32 v16, vcc_lo, v54, s3
	v_add_co_ci_u32_e64 v17, null, 0, v55, vcc_lo
	v_mov_b32_e32 v187, 0
	v_mov_b32_e32 v190, 0
	;; [unrolled: 1-line block ×3, first 2 shown]
	s_clause 0x1
	global_load_dword v13, v[16:17], off offset:2
	global_load_dword v188, v[16:17], off offset:10
	s_and_b32 vcc_lo, exec_lo, s19
	s_waitcnt vmcnt(1)
	v_and_b32_e32 v186, 0xf0f0f0f, v13
	s_waitcnt vmcnt(0)
	v_and_b32_e32 v189, 0xf0f0f0f, v188
	v_lshrrev_b32_e32 v13, 4, v13
	v_dot4c_i32_i8 v187, v186, v18
	global_load_ushort v186, v[11:12], off offset:-54
	v_dot4c_i32_i8 v190, v189, v19
	v_and_b32_e32 v13, 0xf0f0f0f, v13
	v_cvt_f32_i32_e32 v187, v187
	v_cvt_f32_i32_e32 v189, v190
	v_fma_f32 v187, v2, v187, -v3
	v_fma_f32 v189, v2, v189, -v3
	s_waitcnt vmcnt(0)
	v_fma_mix_f32 v187, v187, v186, 0 op_sel_hi:[0,1,0]
	v_fma_mix_f32 v187, v189, v186, v187 op_sel_hi:[0,1,0]
	v_mov_b32_e32 v189, 0
	v_dot4c_i32_i8 v189, v13, v20
	v_cvt_f32_i32_e32 v13, v189
	v_fma_f32 v13, v2, v13, -v3
	v_fma_mix_f32 v13, v13, v186, v187 op_sel_hi:[0,1,0]
	v_lshrrev_b32_e32 v187, 4, v188
	v_mov_b32_e32 v188, 0
	v_and_b32_e32 v187, 0xf0f0f0f, v187
	v_dot4c_i32_i8 v188, v187, v21
	v_cvt_f32_i32_e32 v187, v188
	v_mov_b32_e32 v188, 0
	v_fma_f32 v187, v2, v187, -v3
	v_fma_mix_f32 v13, v187, v186, v13 op_sel_hi:[0,1,0]
	global_load_dword v186, v[16:17], off offset:20
	s_waitcnt vmcnt(0)
	v_and_b32_e32 v187, 0xf0f0f0f, v186
	v_lshrrev_b32_e32 v186, 4, v186
	v_dot4c_i32_i8 v188, v187, v22
	global_load_ushort v187, v[11:12], off offset:-36
	global_load_dword v189, v[16:17], off offset:28
	v_and_b32_e32 v186, 0xf0f0f0f, v186
	v_cvt_f32_i32_e32 v188, v188
	v_fma_f32 v188, v4, v188, -v5
	s_waitcnt vmcnt(1)
	v_fma_mix_f32 v13, v188, v187, v13 op_sel_hi:[0,1,0]
	s_waitcnt vmcnt(0)
	v_and_b32_e32 v190, 0xf0f0f0f, v189
	v_mov_b32_e32 v188, 0
	v_dot4c_i32_i8 v191, v190, v23
	v_dot4c_i32_i8 v188, v186, v24
	v_lshrrev_b32_e32 v186, 4, v189
	v_mov_b32_e32 v189, 0
	v_cvt_f32_i32_e32 v190, v191
	v_mov_b32_e32 v191, 0
	v_and_b32_e32 v186, 0xf0f0f0f, v186
	v_fma_f32 v190, v4, v190, -v5
	v_dot4c_i32_i8 v189, v186, v25
	v_cvt_f32_i32_e32 v186, v188
	v_fma_mix_f32 v13, v190, v187, v13 op_sel_hi:[0,1,0]
	v_cvt_f32_i32_e32 v188, v189
	v_fma_f32 v186, v4, v186, -v5
	v_fma_f32 v188, v4, v188, -v5
	v_fma_mix_f32 v13, v186, v187, v13 op_sel_hi:[0,1,0]
	global_load_dword v186, v[16:17], off offset:38
	v_fma_mix_f32 v13, v188, v187, v13 op_sel_hi:[0,1,0]
	v_mov_b32_e32 v188, 0
	s_waitcnt vmcnt(0)
	v_and_b32_e32 v187, 0xf0f0f0f, v186
	v_lshrrev_b32_e32 v186, 4, v186
	v_dot4c_i32_i8 v188, v187, v26
	global_load_ushort v187, v[11:12], off offset:-18
	global_load_dword v189, v[16:17], off offset:46
	v_and_b32_e32 v186, 0xf0f0f0f, v186
	v_cvt_f32_i32_e32 v188, v188
	v_fma_f32 v188, v6, v188, -v7
	s_waitcnt vmcnt(1)
	v_fma_mix_f32 v13, v188, v187, v13 op_sel_hi:[0,1,0]
	s_waitcnt vmcnt(0)
	v_and_b32_e32 v190, 0xf0f0f0f, v189
	v_mov_b32_e32 v188, 0
	v_dot4c_i32_i8 v191, v190, v27
	v_dot4c_i32_i8 v188, v186, v28
	v_lshrrev_b32_e32 v186, 4, v189
	v_mov_b32_e32 v189, 0
	v_cvt_f32_i32_e32 v190, v191
	v_and_b32_e32 v186, 0xf0f0f0f, v186
	v_fma_f32 v190, v6, v190, -v7
	v_dot4c_i32_i8 v189, v186, v29
	v_cvt_f32_i32_e32 v186, v188
	v_fma_mix_f32 v13, v190, v187, v13 op_sel_hi:[0,1,0]
	v_cvt_f32_i32_e32 v188, v189
	v_fma_f32 v186, v6, v186, -v7
	v_fma_f32 v188, v6, v188, -v7
	v_fma_mix_f32 v13, v186, v187, v13 op_sel_hi:[0,1,0]
	global_load_dword v186, v[16:17], off offset:56
	global_load_ushort v11, v[11:12], off
	global_load_dword v12, v[16:17], off offset:64
	v_mov_b32_e32 v17, 0
	v_fma_mix_f32 v13, v188, v187, v13 op_sel_hi:[0,1,0]
	v_mov_b32_e32 v188, 0
	s_waitcnt vmcnt(2)
	v_and_b32_e32 v187, 0xf0f0f0f, v186
	s_waitcnt vmcnt(0)
	v_and_b32_e32 v16, 0xf0f0f0f, v12
	v_lshrrev_b32_e32 v12, 4, v12
	v_dot4c_i32_i8 v188, v187, v30
	v_dot4c_i32_i8 v17, v16, v31
	v_and_b32_e32 v12, 0xf0f0f0f, v12
	v_cvt_f32_i32_e32 v16, v188
	v_cvt_f32_i32_e32 v17, v17
	v_fma_f32 v16, v8, v16, -v9
	v_fma_f32 v17, v8, v17, -v9
	v_fma_mix_f32 v13, v16, v11, v13 op_sel_hi:[0,1,0]
	v_lshrrev_b32_e32 v16, 4, v186
	v_fma_mix_f32 v13, v17, v11, v13 op_sel_hi:[0,1,0]
	v_and_b32_e32 v16, 0xf0f0f0f, v16
	v_mov_b32_e32 v17, 0
	v_dot4c_i32_i8 v17, v16, v32
	v_mov_b32_e32 v16, 0
	v_dot4c_i32_i8 v16, v12, v33
	v_cvt_f32_i32_e32 v12, v17
	v_cvt_f32_i32_e32 v16, v16
	v_fma_f32 v12, v8, v12, -v9
	v_fma_f32 v16, v8, v16, -v9
	v_fma_mix_f32 v12, v12, v11, v13 op_sel_hi:[0,1,0]
	v_fma_mix_f32 v11, v16, v11, v12 op_sel_hi:[0,1,0]
	ds_bpermute_b32 v12, v42, v11
	s_waitcnt lgkmcnt(0)
	v_add_f32_e32 v11, v11, v12
	s_cbranch_vccz .LBB14_13
; %bb.12:                               ;   in Loop: Header=BB14_11 Depth=1
	global_load_ushort v12, v[34:35], off offset:-2
	s_waitcnt vmcnt(0)
	v_fma_mix_f32 v11, v37, v12, v11 op_sel_hi:[0,1,0]
.LBB14_13:                              ;   in Loop: Header=BB14_11 Depth=1
	v_add_co_u32 v12, vcc_lo, v48, s3
	v_add_co_ci_u32_e64 v13, null, 0, v49, vcc_lo
	v_add_co_u32 v16, vcc_lo, v52, s3
	v_add_co_ci_u32_e64 v17, null, 0, v53, vcc_lo
	s_clause 0x5
	global_load_dword v186, v[12:13], off offset:2
	global_load_dword v187, v[12:13], off offset:10
	;; [unrolled: 1-line block ×6, first 2 shown]
	s_clause 0x1
	global_load_ushort v192, v[16:17], off
	global_load_ushort v193, v[16:17], off offset:18
	s_clause 0x1
	global_load_dword v194, v[12:13], off offset:56
	global_load_dword v12, v[12:13], off offset:64
	s_clause 0x1
	global_load_ushort v13, v[16:17], off offset:36
	global_load_ushort v16, v[16:17], off offset:54
	v_mov_b32_e32 v17, 0
	v_mov_b32_e32 v195, 0
	;; [unrolled: 1-line block ×16, first 2 shown]
	s_andn2_b32 vcc_lo, exec_lo, s19
	s_waitcnt vmcnt(11)
	v_and_b32_e32 v210, 0xf0f0f0f, v186
	s_waitcnt vmcnt(10)
	v_and_b32_e32 v211, 0xf0f0f0f, v187
	v_lshrrev_b32_e32 v186, 4, v186
	v_lshrrev_b32_e32 v187, 4, v187
	s_waitcnt vmcnt(9)
	v_and_b32_e32 v212, 0xf0f0f0f, v188
	v_dot4c_i32_i8 v17, v210, v18
	v_dot4c_i32_i8 v195, v211, v19
	v_and_b32_e32 v186, 0xf0f0f0f, v186
	v_and_b32_e32 v187, 0xf0f0f0f, v187
	s_waitcnt vmcnt(8)
	v_and_b32_e32 v213, 0xf0f0f0f, v189
	v_cvt_f32_i32_e32 v17, v17
	v_cvt_f32_i32_e32 v195, v195
	v_dot4c_i32_i8 v196, v186, v20
	v_dot4c_i32_i8 v197, v187, v21
	v_lshrrev_b32_e32 v188, 4, v188
	v_fma_f32 v17, v2, v17, -v3
	v_fma_f32 v187, v2, v195, -v3
	v_cvt_f32_i32_e32 v195, v196
	v_dot4c_i32_i8 v198, v212, v22
	v_cvt_f32_i32_e32 v196, v197
	s_waitcnt vmcnt(5)
	v_fma_mix_f32 v17, v17, v192, 0 op_sel_hi:[0,1,0]
	v_lshrrev_b32_e32 v189, 4, v189
	v_fma_f32 v195, v2, v195, -v3
	v_dot4c_i32_i8 v199, v213, v23
	v_fma_f32 v196, v2, v196, -v3
	v_fma_mix_f32 v17, v187, v192, v17 op_sel_hi:[0,1,0]
	v_and_b32_e32 v187, 0xf0f0f0f, v188
	v_cvt_f32_i32_e32 v188, v198
	v_and_b32_e32 v189, 0xf0f0f0f, v189
	v_and_b32_e32 v210, 0xf0f0f0f, v190
	v_fma_mix_f32 v17, v195, v192, v17 op_sel_hi:[0,1,0]
	v_cvt_f32_i32_e32 v195, v199
	v_dot4c_i32_i8 v200, v187, v24
	v_fma_f32 v187, v4, v188, -v5
	v_and_b32_e32 v186, 0xf0f0f0f, v191
	v_fma_mix_f32 v17, v196, v192, v17 op_sel_hi:[0,1,0]
	v_lshrrev_b32_e32 v188, 4, v191
	v_dot4c_i32_i8 v201, v189, v25
	v_fma_f32 v189, v4, v195, -v5
	v_cvt_f32_i32_e32 v191, v200
	s_waitcnt vmcnt(4)
	v_fma_mix_f32 v17, v187, v193, v17 op_sel_hi:[0,1,0]
	v_lshrrev_b32_e32 v190, 4, v190
	v_dot4c_i32_i8 v202, v210, v26
	v_cvt_f32_i32_e32 v192, v201
	v_fma_f32 v191, v4, v191, -v5
	v_fma_mix_f32 v17, v189, v193, v17 op_sel_hi:[0,1,0]
	v_dot4c_i32_i8 v203, v186, v27
	v_and_b32_e32 v186, 0xf0f0f0f, v190
	v_cvt_f32_i32_e32 v189, v202
	v_fma_f32 v190, v4, v192, -v5
	v_fma_mix_f32 v17, v191, v193, v17 op_sel_hi:[0,1,0]
	v_and_b32_e32 v188, 0xf0f0f0f, v188
	v_cvt_f32_i32_e32 v191, v203
	v_dot4c_i32_i8 v204, v186, v28
	v_fma_f32 v186, v6, v189, -v7
	v_fma_mix_f32 v17, v190, v193, v17 op_sel_hi:[0,1,0]
	s_waitcnt vmcnt(3)
	v_and_b32_e32 v187, 0xf0f0f0f, v194
	v_dot4c_i32_i8 v205, v188, v29
	v_fma_f32 v188, v6, v191, -v7
	v_cvt_f32_i32_e32 v190, v204
	s_waitcnt vmcnt(1)
	v_fma_mix_f32 v17, v186, v13, v17 op_sel_hi:[0,1,0]
	v_and_b32_e32 v189, 0xf0f0f0f, v12
	v_lshrrev_b32_e32 v186, 4, v194
	v_dot4c_i32_i8 v206, v187, v30
	v_cvt_f32_i32_e32 v187, v205
	v_fma_f32 v190, v6, v190, -v7
	v_fma_mix_f32 v17, v188, v13, v17 op_sel_hi:[0,1,0]
	v_lshrrev_b32_e32 v12, 4, v12
	v_dot4c_i32_i8 v207, v189, v31
	v_cvt_f32_i32_e32 v188, v206
	v_fma_f32 v187, v6, v187, -v7
	v_fma_mix_f32 v17, v190, v13, v17 op_sel_hi:[0,1,0]
	v_and_b32_e32 v186, 0xf0f0f0f, v186
	v_and_b32_e32 v12, 0xf0f0f0f, v12
	v_cvt_f32_i32_e32 v189, v207
	v_fma_f32 v188, v8, v188, -v9
	v_fma_mix_f32 v13, v187, v13, v17 op_sel_hi:[0,1,0]
	v_dot4c_i32_i8 v208, v186, v32
	v_dot4c_i32_i8 v209, v12, v33
	v_fma_f32 v12, v8, v189, -v9
	s_waitcnt vmcnt(0)
	v_fma_mix_f32 v13, v188, v16, v13 op_sel_hi:[0,1,0]
	v_cvt_f32_i32_e32 v17, v208
	v_cvt_f32_i32_e32 v186, v209
	v_fma_mix_f32 v12, v12, v16, v13 op_sel_hi:[0,1,0]
	v_fma_f32 v13, v8, v17, -v9
	v_fma_f32 v17, v8, v186, -v9
	v_fma_mix_f32 v12, v13, v16, v12 op_sel_hi:[0,1,0]
	v_fma_mix_f32 v12, v17, v16, v12 op_sel_hi:[0,1,0]
	ds_bpermute_b32 v13, v42, v12
	s_waitcnt lgkmcnt(0)
	v_add_f32_e32 v12, v12, v13
	s_cbranch_vccnz .LBB14_15
; %bb.14:                               ;   in Loop: Header=BB14_11 Depth=1
	global_load_ushort v13, v[34:35], off
	s_waitcnt vmcnt(0)
	v_fma_mix_f32 v12, v37, v13, v12 op_sel_hi:[0,1,0]
.LBB14_15:                              ;   in Loop: Header=BB14_11 Depth=1
	v_add_co_u32 v16, vcc_lo, v50, s24
	v_add_co_ci_u32_e64 v17, null, 0, v51, vcc_lo
	v_add_co_u32 v186, vcc_lo, v56, s24
	v_add_co_ci_u32_e64 v187, null, 0, v57, vcc_lo
	v_add_co_u32 v191, vcc_lo, v60, s24
	v_add_co_ci_u32_e64 v192, null, 0, v61, vcc_lo
	v_add_co_u32 v193, vcc_lo, v58, s24
	v_add_co_ci_u32_e64 v194, null, 0, v59, vcc_lo
	global_load_dword v189, v[186:187], off
	global_load_ushort v190, v[16:17], off
	global_load_dword v191, v[191:192], off
	global_load_ushort v192, v[193:194], off
	v_add_co_u32 v16, vcc_lo, v180, s24
	v_add_co_ci_u32_e64 v17, null, 0, v181, vcc_lo
	v_add_co_u32 v186, vcc_lo, v182, s24
	v_add_co_ci_u32_e64 v187, null, 0, v183, vcc_lo
	global_load_dword v193, v[16:17], off
	v_add_co_u32 v16, vcc_lo, v178, s24
	v_add_co_ci_u32_e64 v17, null, 0, v179, vcc_lo
	v_add_co_u32 v194, vcc_lo, v176, s24
	v_add_co_ci_u32_e64 v195, null, 0, v177, vcc_lo
	;; [unrolled: 2-line block ×4, first 2 shown]
	global_load_ushort v196, v[186:187], off
	global_load_dword v197, v[194:195], off
	global_load_ushort v199, v[16:17], off
	global_load_dword v201, v[200:201], off
	global_load_ushort v204, v[202:203], off
	v_add_co_u32 v16, vcc_lo, v170, s24
	v_add_co_ci_u32_e64 v17, null, 0, v171, vcc_lo
	v_add_co_u32 v186, vcc_lo, v168, s24
	v_add_co_ci_u32_e64 v187, null, 0, v169, vcc_lo
	v_add_co_u32 v194, vcc_lo, v166, s24
	v_add_co_ci_u32_e64 v195, null, 0, v167, vcc_lo
	v_add_co_u32 v202, vcc_lo, v164, s24
	v_add_co_ci_u32_e64 v203, null, 0, v165, vcc_lo
	v_add_co_u32 v205, vcc_lo, v160, s24
	v_add_co_ci_u32_e64 v206, null, 0, v161, vcc_lo
	global_load_dword v225, v[186:187], off
	global_load_ushort v226, v[16:17], off
	global_load_dword v227, v[202:203], off
	global_load_ushort v228, v[194:195], off
	global_load_dword v229, v[205:206], off
	v_add_f32_e32 v13, 0x40051340, v11
	v_add_f32_e32 v16, 0x40051340, v12
	v_cndmask_b32_e64 v195, v12, v11, s1
	v_add_co_u32 v11, vcc_lo, v156, s24
	v_add_co_ci_u32_e64 v12, null, 0, v157, vcc_lo
	v_max3_f32 v13, v10, v13, v16
	s_add_i32 s2, s2, s8
	global_load_dword v194, v[11:12], off
	s_cmp_ge_i32 s2, s34
	ds_bpermute_b32 v16, v43, v13
	s_waitcnt lgkmcnt(0)
	v_max_f32_e32 v16, v16, v16
	v_max_f32_e32 v13, v13, v16
	ds_bpermute_b32 v16, v44, v13
	s_waitcnt lgkmcnt(0)
	v_max_f32_e32 v16, v16, v16
	v_max_f32_e32 v13, v13, v16
	;; [unrolled: 4-line block ×3, first 2 shown]
	v_add_co_u32 v16, vcc_lo, v162, s24
	v_add_co_ci_u32_e64 v17, null, 0, v163, vcc_lo
	ds_bpermute_b32 v186, v46, v13
	v_add_co_u32 v11, vcc_lo, v158, s24
	global_load_ushort v203, v[16:17], off
	v_add_co_ci_u32_e64 v12, null, 0, v159, vcc_lo
	v_add_co_u32 v187, vcc_lo, v154, s24
	v_add_co_ci_u32_e64 v188, null, 0, v155, vcc_lo
	v_add_co_u32 v16, vcc_lo, v152, s24
	v_add_co_ci_u32_e64 v17, null, 0, v153, vcc_lo
	global_load_ushort v230, v[11:12], off
	global_load_dword v231, v[16:17], off
	v_add_co_u32 v209, vcc_lo, v150, s24
	v_add_co_ci_u32_e64 v210, null, 0, v151, vcc_lo
	s_waitcnt lgkmcnt(0)
	v_max_f32_e32 v186, v186, v186
	v_add_co_u32 v205, vcc_lo, v148, s24
	v_add_co_ci_u32_e64 v206, null, 0, v149, vcc_lo
	v_max_f32_e32 v186, v13, v186
	v_add_co_u32 v211, vcc_lo, v146, s24
	v_add_co_ci_u32_e64 v212, null, 0, v147, vcc_lo
	v_sub_f32_e32 v195, v195, v186
	v_sub_f32_e32 v198, v10, v186
	v_add_co_u32 v10, vcc_lo, v144, s24
	v_add_co_ci_u32_e64 v11, null, 0, v145, vcc_lo
	v_mul_f32_e32 v13, 0x3fb8aa3b, v195
	v_add_co_u32 v12, vcc_lo, v142, s24
	v_mul_f32_e32 v202, 0x3fb8aa3b, v198
	global_load_dword v232, v[205:206], off
	v_fma_f32 v16, 0x3fb8aa3b, v195, -v13
	v_rndne_f32_e32 v200, v13
	global_load_ushort v233, v[187:188], off
	v_fma_f32 v207, 0x3fb8aa3b, v198, -v202
	v_rndne_f32_e32 v208, v202
	v_fmac_f32_e32 v16, 0x32a5705f, v195
	v_sub_f32_e32 v17, v13, v200
	v_add_co_ci_u32_e64 v13, null, 0, v143, vcc_lo
	v_cvt_i32_f32_e32 v200, v200
	v_fmac_f32_e32 v207, 0x32a5705f, v198
	v_add_f32_e32 v213, v17, v16
	v_add_co_u32 v16, vcc_lo, v140, s24
	v_add_co_ci_u32_e64 v17, null, 0, v141, vcc_lo
	v_exp_f32_e32 v217, v213
	v_add_co_u32 v213, vcc_lo, v138, s24
	v_add_co_ci_u32_e64 v214, null, 0, v139, vcc_lo
	v_add_co_u32 v215, vcc_lo, v136, s24
	v_add_co_ci_u32_e64 v216, null, 0, v137, vcc_lo
	v_cmp_ngt_f32_e32 vcc_lo, 0xc2ce8ed0, v195
	v_ldexp_f32 v200, v217, v200
	v_sub_f32_e32 v202, v202, v208
	v_cvt_i32_f32_e32 v205, v208
	v_cndmask_b32_e32 v200, 0, v200, vcc_lo
	v_add_co_u32 v217, vcc_lo, v134, s24
	v_add_co_ci_u32_e64 v218, null, 0, v135, vcc_lo
	v_cmp_nlt_f32_e32 vcc_lo, 0x42b17218, v195
	v_add_f32_e32 v202, v202, v207
	v_cndmask_b32_e32 v187, 0x7f800000, v200, vcc_lo
	v_exp_f32_e32 v202, v202
	v_add_co_u32 v219, vcc_lo, v132, s24
	v_add_co_ci_u32_e64 v220, null, 0, v133, vcc_lo
	v_cvt_f16_f32_e32 v195, v187
	v_cmp_ngt_f32_e32 vcc_lo, 0xc2ce8ed0, v198
	ds_write_b16 v39, v195
	v_ldexp_f32 v188, v202, v205
	ds_read_b128 v[205:208], v47
	global_load_ushort v209, v[209:210], off
	global_load_dword v210, v[10:11], off
	global_load_ushort v211, v[211:212], off
	global_load_dword v212, v[16:17], off
	;; [unrolled: 2-line block ×3, first 2 shown]
	global_load_ushort v195, v[213:214], off
	v_cndmask_b32_e32 v188, 0, v188, vcc_lo
	v_add_co_u32 v221, vcc_lo, v128, s24
	v_add_co_ci_u32_e64 v222, null, 0, v129, vcc_lo
	v_cmp_nlt_f32_e32 vcc_lo, 0x42b17218, v198
	global_load_dword v198, v[219:220], off
	global_load_ushort v16, v[217:218], off
	global_load_dword v17, v[221:222], off
	v_cndmask_b32_e32 v188, 0x7f800000, v188, vcc_lo
	v_add_co_u32 v223, vcc_lo, v124, s24
	v_add_co_ci_u32_e64 v224, null, 0, v125, vcc_lo
	v_cvt_f16_f32_e32 v10, v188
	s_waitcnt lgkmcnt(0)
	v_mul_u32_u24_sdwa v214, v206, v185 dst_sel:DWORD dst_unused:UNUSED_PAD src0_sel:WORD_0 src1_sel:DWORD
	v_mul_u32_u24_sdwa v206, v206, v185 dst_sel:DWORD dst_unused:UNUSED_PAD src0_sel:WORD_1 src1_sel:DWORD
	v_mul_u32_u24_sdwa v215, v207, v185 dst_sel:DWORD dst_unused:UNUSED_PAD src0_sel:WORD_0 src1_sel:DWORD
	v_mul_u32_u24_sdwa v207, v207, v185 dst_sel:DWORD dst_unused:UNUSED_PAD src0_sel:WORD_1 src1_sel:DWORD
	v_mul_u32_u24_sdwa v213, v10, v185 dst_sel:DWORD dst_unused:UNUSED_PAD src0_sel:WORD_0 src1_sel:DWORD
	v_mul_u32_u24_sdwa v216, v208, v185 dst_sel:DWORD dst_unused:UNUSED_PAD src0_sel:WORD_0 src1_sel:DWORD
	ds_read_b128 v[10:13], v47 offset:16
	v_fma_f32 v41, v41, v188, v187
	v_pk_mul_f16 v15, v15, v213
	v_pk_mul_f16 v14, v14, v213
	v_mul_u32_u24_sdwa v213, v205, v185 dst_sel:DWORD dst_unused:UNUSED_PAD src0_sel:WORD_0 src1_sel:DWORD
	v_mul_u32_u24_sdwa v205, v205, v185 dst_sel:DWORD dst_unused:UNUSED_PAD src0_sel:WORD_1 src1_sel:DWORD
	s_waitcnt vmcnt(30)
	v_ashrrev_i32_e32 v189, v184, v189
	s_waitcnt vmcnt(29)
	v_mul_u32_u24_e32 v190, 0x10001, v190
	s_waitcnt vmcnt(28)
	v_ashrrev_i32_e32 v191, v184, v191
	s_waitcnt vmcnt(27)
	v_mul_u32_u24_e32 v192, 0x10001, v192
	v_and_b32_e32 v189, 0xf0f0f0f, v189
	v_and_b32_e32 v191, 0xf0f0f0f, v191
	v_lshrrev_b32_e32 v222, 16, v189
	s_waitcnt vmcnt(26)
	v_ashrrev_i32_e32 v193, v184, v193
	v_and_b32_e32 v244, 0xf00, v222
	v_lshlrev_b16 v222, 8, v222
	v_and_b32_e32 v193, 0xf0f0f0f, v193
	v_add_nc_u16 v222, 0xf800, v222
	s_waitcnt vmcnt(25)
	v_mul_u32_u24_e32 v196, 0x10001, v196
	s_waitcnt vmcnt(24)
	v_ashrrev_i32_e32 v197, v184, v197
	v_or_b32_sdwa v222, v244, v222 dst_sel:DWORD dst_unused:UNUSED_PAD src0_sel:DWORD src1_sel:BYTE_1
	s_waitcnt vmcnt(22)
	v_ashrrev_i32_e32 v201, v184, v201
	v_mul_u32_u24_e32 v199, 0x10001, v199
	s_waitcnt vmcnt(21)
	v_mul_u32_u24_e32 v204, 0x10001, v204
	v_and_b32_e32 v197, 0xf0f0f0f, v197
	v_add_nc_u16 v222, 0xf800, v222
	v_and_b32_e32 v201, 0xf0f0f0f, v201
	v_lshrrev_b32_e32 v234, 16, v197
	v_and_b32_e32 v235, 0xf00, v197
	v_lshlrev_b16 v197, 8, v197
	v_lshrrev_b32_e32 v236, 16, v201
	v_and_b32_e32 v237, 0xf00, v201
	v_lshlrev_b16 v201, 8, v201
	v_and_b32_e32 v247, 0xf00, v234
	v_add_nc_u16 v197, 0xf800, v197
	v_lshlrev_b16 v234, 8, v234
	v_and_b32_e32 v248, 0xf00, v236
	s_waitcnt vmcnt(20)
	v_ashrrev_i32_e32 v217, v184, v225
	v_and_b32_e32 v225, 0xf00, v189
	v_lshlrev_b16 v189, 8, v189
	s_waitcnt vmcnt(19)
	v_mul_u32_u24_e32 v218, 0x10001, v226
	s_waitcnt vmcnt(18)
	v_ashrrev_i32_e32 v219, v184, v227
	v_lshrrev_b32_e32 v226, 16, v191
	v_and_b32_e32 v227, 0xf00, v191
	v_lshlrev_b16 v191, 8, v191
	v_add_nc_u16 v189, 0xf800, v189
	s_waitcnt vmcnt(17)
	v_mul_u32_u24_e32 v220, 0x10001, v228
	s_waitcnt vmcnt(16)
	v_ashrrev_i32_e32 v221, v184, v229
	v_lshrrev_b32_e32 v228, 16, v193
	v_and_b32_e32 v229, 0xf00, v193
	v_lshlrev_b16 v193, 8, v193
	v_and_b32_e32 v245, 0xf00, v226
	v_lshlrev_b16 v226, 8, v226
	v_add_nc_u16 v191, 0xf800, v191
	v_or_b32_sdwa v189, v225, v189 dst_sel:DWORD dst_unused:UNUSED_PAD src0_sel:DWORD src1_sel:BYTE_1
	v_and_b32_e32 v246, 0xf00, v228
	v_lshlrev_b16 v228, 8, v228
	v_add_nc_u16 v193, 0xf800, v193
	v_add_nc_u16 v225, 0xf800, v226
	v_or_b32_sdwa v191, v227, v191 dst_sel:DWORD dst_unused:UNUSED_PAD src0_sel:DWORD src1_sel:BYTE_1
	v_add_nc_u16 v189, 0xf800, v189
	v_and_b32_e32 v217, 0xf0f0f0f, v217
	v_lshlrev_b16 v236, 8, v236
	v_add_nc_u16 v226, 0xf800, v228
	v_or_b32_sdwa v193, v229, v193 dst_sel:DWORD dst_unused:UNUSED_PAD src0_sel:DWORD src1_sel:BYTE_1
	v_or_b32_sdwa v197, v235, v197 dst_sel:DWORD dst_unused:UNUSED_PAD src0_sel:DWORD src1_sel:BYTE_1
	;; [unrolled: 1-line block ×3, first 2 shown]
	v_add_nc_u16 v191, 0xf800, v191
	v_lshrrev_b32_e32 v235, 8, v189
	v_lshrrev_b32_e32 v238, 16, v217
	v_add_nc_u16 v201, 0xf800, v201
	v_add_nc_u16 v227, 0xf800, v234
	;; [unrolled: 1-line block ×3, first 2 shown]
	v_or_b32_sdwa v226, v246, v226 dst_sel:DWORD dst_unused:UNUSED_PAD src0_sel:DWORD src1_sel:BYTE_1
	v_add_nc_u16 v193, 0xf800, v193
	v_cvt_f16_i16_sdwa v189, sext(v189) dst_sel:DWORD dst_unused:UNUSED_PAD src0_sel:BYTE_0
	v_add_nc_u16 v225, 0xf800, v225
	v_lshrrev_b32_e32 v236, 8, v191
	v_cvt_f16_i16_sdwa v235, sext(v235) dst_sel:DWORD dst_unused:UNUSED_PAD src0_sel:BYTE_0
	v_lshrrev_b32_e32 v244, 8, v222
	v_and_b32_e32 v239, 0xf00, v217
	v_lshlrev_b16 v217, 8, v217
	v_and_b32_e32 v249, 0xf00, v238
	v_lshlrev_b16 v238, 8, v238
	v_or_b32_sdwa v201, v237, v201 dst_sel:DWORD dst_unused:UNUSED_PAD src0_sel:DWORD src1_sel:BYTE_1
	v_or_b32_sdwa v227, v247, v227 dst_sel:DWORD dst_unused:UNUSED_PAD src0_sel:DWORD src1_sel:BYTE_1
	v_add_nc_u16 v197, 0xf800, v197
	v_cvt_f16_i16_sdwa v191, sext(v191) dst_sel:DWORD dst_unused:UNUSED_PAD src0_sel:BYTE_0
	v_add_nc_u16 v226, 0xf800, v226
	v_lshrrev_b32_e32 v237, 8, v193
	v_cvt_f16_i16_sdwa v222, sext(v222) dst_sel:DWORD dst_unused:UNUSED_PAD src0_sel:BYTE_0
	v_cvt_f16_i16_sdwa v236, sext(v236) dst_sel:DWORD dst_unused:UNUSED_PAD src0_sel:BYTE_0
	v_lshrrev_b32_e32 v245, 8, v225
	v_pack_b32_f16 v189, v189, v235
	v_cvt_f16_i16_sdwa v235, sext(v244) dst_sel:DWORD dst_unused:UNUSED_PAD src0_sel:BYTE_0
	v_and_b32_e32 v219, 0xf0f0f0f, v219
	v_add_nc_u16 v217, 0xf800, v217
	v_add_nc_u16 v229, 0xf800, v238
	v_or_b32_sdwa v228, v248, v228 dst_sel:DWORD dst_unused:UNUSED_PAD src0_sel:DWORD src1_sel:BYTE_1
	v_add_nc_u16 v201, 0xf800, v201
	v_cvt_f16_i16_sdwa v193, sext(v193) dst_sel:DWORD dst_unused:UNUSED_PAD src0_sel:BYTE_0
	v_add_nc_u16 v227, 0xf800, v227
	v_lshrrev_b32_e32 v238, 8, v197
	v_cvt_f16_i16_sdwa v225, sext(v225) dst_sel:DWORD dst_unused:UNUSED_PAD src0_sel:BYTE_0
	v_cvt_f16_i16_sdwa v237, sext(v237) dst_sel:DWORD dst_unused:UNUSED_PAD src0_sel:BYTE_0
	v_lshrrev_b32_e32 v246, 8, v226
	v_pack_b32_f16 v191, v191, v236
	v_cvt_f16_i16_sdwa v236, sext(v245) dst_sel:DWORD dst_unused:UNUSED_PAD src0_sel:BYTE_0
	v_pack_b32_f16 v222, v222, v235
	v_lshrrev_b32_e32 v240, 16, v219
	v_and_b32_e32 v241, 0xf00, v219
	v_lshlrev_b16 v219, 8, v219
	v_or_b32_sdwa v217, v239, v217 dst_sel:DWORD dst_unused:UNUSED_PAD src0_sel:DWORD src1_sel:BYTE_1
	v_or_b32_sdwa v229, v249, v229 dst_sel:DWORD dst_unused:UNUSED_PAD src0_sel:DWORD src1_sel:BYTE_1
	v_cvt_f16_i16_sdwa v197, sext(v197) dst_sel:DWORD dst_unused:UNUSED_PAD src0_sel:BYTE_0
	v_add_nc_u16 v228, 0xf800, v228
	v_lshrrev_b32_e32 v239, 8, v201
	v_cvt_f16_i16_sdwa v226, sext(v226) dst_sel:DWORD dst_unused:UNUSED_PAD src0_sel:BYTE_0
	v_cvt_f16_i16_sdwa v238, sext(v238) dst_sel:DWORD dst_unused:UNUSED_PAD src0_sel:BYTE_0
	v_lshrrev_b32_e32 v247, 8, v227
	v_pack_b32_f16 v193, v193, v237
	v_cvt_f16_i16_sdwa v237, sext(v246) dst_sel:DWORD dst_unused:UNUSED_PAD src0_sel:BYTE_0
	v_pk_mul_f16 v189, v189, v190
	v_pack_b32_f16 v225, v225, v236
	v_pk_mul_f16 v190, v222, v190
	v_and_b32_e32 v250, 0xf00, v240
	v_lshlrev_b16 v240, 8, v240
	v_add_nc_u16 v219, 0xf800, v219
	v_add_nc_u16 v217, 0xf800, v217
	v_cvt_f16_i16_sdwa v201, sext(v201) dst_sel:DWORD dst_unused:UNUSED_PAD src0_sel:BYTE_0
	v_add_nc_u16 v229, 0xf800, v229
	v_cvt_f16_i16_sdwa v227, sext(v227) dst_sel:DWORD dst_unused:UNUSED_PAD src0_sel:BYTE_0
	v_cvt_f16_i16_sdwa v239, sext(v239) dst_sel:DWORD dst_unused:UNUSED_PAD src0_sel:BYTE_0
	v_lshrrev_b32_e32 v248, 8, v228
	v_pack_b32_f16 v197, v197, v238
	v_cvt_f16_i16_sdwa v238, sext(v247) dst_sel:DWORD dst_unused:UNUSED_PAD src0_sel:BYTE_0
	v_pk_mul_f16 v191, v191, v192
	v_pack_b32_f16 v222, v226, v237
	v_pk_fma_f16 v15, v189, v213, v15
	v_pk_mul_f16 v189, v225, v192
	v_pk_fma_f16 v14, v190, v213, v14
	v_and_b32_e32 v221, 0xf0f0f0f, v221
	v_add_nc_u16 v234, 0xf800, v240
	v_or_b32_sdwa v219, v241, v219 dst_sel:DWORD dst_unused:UNUSED_PAD src0_sel:DWORD src1_sel:BYTE_1
	v_lshrrev_b32_e32 v240, 8, v217
	v_cvt_f16_i16_sdwa v228, sext(v228) dst_sel:DWORD dst_unused:UNUSED_PAD src0_sel:BYTE_0
	v_lshrrev_b32_e32 v249, 8, v229
	v_pack_b32_f16 v201, v201, v239
	v_cvt_f16_i16_sdwa v239, sext(v248) dst_sel:DWORD dst_unused:UNUSED_PAD src0_sel:BYTE_0
	v_pk_mul_f16 v190, v193, v196
	v_pack_b32_f16 v192, v227, v238
	v_pk_mul_f16 v193, v222, v196
	v_pk_fma_f16 v15, v191, v205, v15
	v_pk_fma_f16 v14, v189, v205, v14
	v_lshrrev_b32_e32 v242, 16, v221
	v_add_nc_u16 v219, 0xf800, v219
	v_cvt_f16_i16_sdwa v217, sext(v217) dst_sel:DWORD dst_unused:UNUSED_PAD src0_sel:BYTE_0
	v_cvt_f16_i16_sdwa v240, sext(v240) dst_sel:DWORD dst_unused:UNUSED_PAD src0_sel:BYTE_0
	;; [unrolled: 1-line block ×4, first 2 shown]
	v_pk_mul_f16 v189, v197, v199
	v_pack_b32_f16 v191, v228, v239
	v_pk_mul_f16 v192, v192, v199
	v_pk_fma_f16 v15, v190, v214, v15
	v_pk_fma_f16 v14, v193, v214, v14
	v_and_b32_e32 v243, 0xf00, v221
	v_lshlrev_b16 v221, 8, v221
	v_and_b32_e32 v251, 0xf00, v242
	v_lshlrev_b16 v242, 8, v242
	v_lshrrev_b32_e32 v241, 8, v219
	v_pack_b32_f16 v217, v217, v240
	v_pk_mul_f16 v190, v201, v204
	v_pack_b32_f16 v193, v229, v235
	v_pk_mul_f16 v191, v191, v204
	v_pk_fma_f16 v15, v189, v206, v15
	v_pk_fma_f16 v14, v192, v206, v14
	v_add_nc_u16 v221, 0xf800, v221
	v_or_b32_sdwa v234, v250, v234 dst_sel:DWORD dst_unused:UNUSED_PAD src0_sel:DWORD src1_sel:BYTE_1
	v_cvt_f16_i16_sdwa v219, sext(v219) dst_sel:DWORD dst_unused:UNUSED_PAD src0_sel:BYTE_0
	v_cvt_f16_i16_sdwa v241, sext(v241) dst_sel:DWORD dst_unused:UNUSED_PAD src0_sel:BYTE_0
	v_pk_mul_f16 v192, v217, v218
	v_pk_mul_f16 v193, v193, v218
	v_pk_fma_f16 v15, v190, v215, v15
	v_pk_fma_f16 v14, v191, v215, v14
	v_add_nc_u16 v190, 0xf800, v242
	global_load_dword v201, v[223:224], off
	v_add_nc_u16 v234, 0xf800, v234
	v_pack_b32_f16 v219, v219, v241
	v_pk_fma_f16 v15, v192, v207, v15
	v_pk_fma_f16 v192, v193, v207, v14
	v_or_b32_sdwa v14, v251, v190 dst_sel:DWORD dst_unused:UNUSED_PAD src0_sel:DWORD src1_sel:BYTE_1
	v_or_b32_sdwa v190, v243, v221 dst_sel:DWORD dst_unused:UNUSED_PAD src0_sel:DWORD src1_sel:BYTE_1
	v_lshrrev_b32_e32 v250, 8, v234
	v_pk_mul_f16 v191, v219, v220
	v_cvt_f16_i16_sdwa v234, sext(v234) dst_sel:DWORD dst_unused:UNUSED_PAD src0_sel:BYTE_0
	v_add_nc_u16 v193, 0xf800, v14
	v_add_nc_u16 v190, 0xf800, v190
	v_add_co_u32 v14, vcc_lo, v130, s24
	v_cvt_f16_i16_sdwa v189, sext(v250) dst_sel:DWORD dst_unused:UNUSED_PAD src0_sel:BYTE_0
	v_pk_fma_f16 v191, v191, v216, v15
	v_add_co_ci_u32_e64 v15, null, 0, v131, vcc_lo
	s_waitcnt vmcnt(16)
	v_ashrrev_i32_e32 v194, v184, v194
	v_lshrrev_b32_e32 v197, 8, v190
	v_lshrrev_b32_e32 v199, 8, v193
	v_pack_b32_f16 v189, v234, v189
	v_cvt_f16_i16_sdwa v190, sext(v190) dst_sel:DWORD dst_unused:UNUSED_PAD src0_sel:BYTE_0
	global_load_ushort v196, v[14:15], off
	v_and_b32_e32 v14, 0xf0f0f0f, v194
	v_cvt_f16_i16_sdwa v15, sext(v197) dst_sel:DWORD dst_unused:UNUSED_PAD src0_sel:BYTE_0
	v_cvt_f16_i16_sdwa v193, sext(v193) dst_sel:DWORD dst_unused:UNUSED_PAD src0_sel:BYTE_0
	;; [unrolled: 1-line block ×3, first 2 shown]
	v_pk_mul_f16 v189, v189, v220
	s_waitcnt vmcnt(16)
	v_mul_u32_u24_e32 v197, 0x10001, v203
	v_pack_b32_f16 v15, v190, v15
	v_lshrrev_b32_e32 v199, 16, v14
	v_pack_b32_f16 v190, v193, v194
	v_lshlrev_b16 v194, 8, v14
	v_pk_fma_f16 v189, v189, v216, v192
	v_mul_u32_u24_sdwa v192, v208, v185 dst_sel:DWORD dst_unused:UNUSED_PAD src0_sel:WORD_1 src1_sel:DWORD
	v_pk_mul_f16 v15, v15, v197
	v_pk_mul_f16 v190, v190, v197
	v_and_b32_e32 v14, 0xf00, v14
	v_add_nc_u16 v194, 0xf800, v194
	v_lshlrev_b16 v193, 8, v199
	v_pk_fma_f16 v191, v15, v192, v191
	v_pk_fma_f16 v189, v190, v192, v189
	v_and_b32_e32 v197, 0xf00, v199
	v_or_b32_sdwa v192, v14, v194 dst_sel:DWORD dst_unused:UNUSED_PAD src0_sel:DWORD src1_sel:BYTE_1
	v_add_co_u32 v14, vcc_lo, v120, s24
	v_add_co_ci_u32_e64 v15, null, 0, v121, vcc_lo
	v_add_nc_u16 v193, 0xf800, v193
	v_add_nc_u16 v192, 0xf800, v192
	s_waitcnt vmcnt(15)
	v_mul_u32_u24_e32 v194, 0x10001, v230
	global_load_dword v199, v[14:15], off
	v_add_co_u32 v14, vcc_lo, v126, s24
	v_or_b32_sdwa v190, v197, v193 dst_sel:DWORD dst_unused:UNUSED_PAD src0_sel:DWORD src1_sel:BYTE_1
	v_lshrrev_b32_e32 v197, 8, v192
	v_add_co_ci_u32_e64 v15, null, 0, v127, vcc_lo
	s_waitcnt vmcnt(15)
	v_ashrrev_i32_e32 v193, v184, v231
	v_add_nc_u16 v190, 0xf800, v190
	v_cvt_f16_i16_sdwa v204, sext(v197) dst_sel:DWORD dst_unused:UNUSED_PAD src0_sel:BYTE_0
	global_load_ushort v197, v[14:15], off
	v_cvt_f16_i16_sdwa v192, sext(v192) dst_sel:DWORD dst_unused:UNUSED_PAD src0_sel:BYTE_0
	v_and_b32_e32 v193, 0xf0f0f0f, v193
	v_lshrrev_b32_e32 v203, 8, v190
	v_cvt_f16_i16_sdwa v14, sext(v190) dst_sel:DWORD dst_unused:UNUSED_PAD src0_sel:BYTE_0
	s_waitcnt vmcnt(9)
	v_mul_u32_u24_e32 v200, 0x10001, v200
	v_pack_b32_f16 v192, v192, v204
	v_lshlrev_b16 v205, 8, v193
	v_cvt_f16_i16_sdwa v15, sext(v203) dst_sel:DWORD dst_unused:UNUSED_PAD src0_sel:BYTE_0
	v_lshrrev_b32_e32 v190, 16, v193
	v_and_b32_e32 v193, 0xf00, v193
	v_pk_mul_f16 v192, v192, v194
	v_add_nc_u16 v203, 0xf800, v205
	v_pack_b32_f16 v14, v14, v15
	v_lshlrev_b16 v204, 8, v190
	s_waitcnt lgkmcnt(0)
	v_mul_u32_u24_sdwa v15, v10, v185 dst_sel:DWORD dst_unused:UNUSED_PAD src0_sel:WORD_0 src1_sel:DWORD
	v_and_b32_e32 v190, 0xf00, v190
	v_or_b32_sdwa v193, v193, v203 dst_sel:DWORD dst_unused:UNUSED_PAD src0_sel:DWORD src1_sel:BYTE_1
	v_pk_mul_f16 v14, v14, v194
	v_add_nc_u16 v194, 0xf800, v204
	v_pk_fma_f16 v191, v192, v15, v191
	v_mul_u32_u24_e32 v203, 0x10001, v233
	v_add_nc_u16 v193, 0xf800, v193
	v_pk_fma_f16 v189, v14, v15, v189
	v_add_co_u32 v14, vcc_lo, v116, s24
	v_or_b32_sdwa v190, v190, v194 dst_sel:DWORD dst_unused:UNUSED_PAD src0_sel:DWORD src1_sel:BYTE_1
	v_lshrrev_b32_e32 v192, 8, v193
	v_cvt_f16_i16_sdwa v194, sext(v193) dst_sel:DWORD dst_unused:UNUSED_PAD src0_sel:BYTE_0
	v_ashrrev_i32_e32 v193, v184, v232
	v_add_co_ci_u32_e64 v15, null, 0, v117, vcc_lo
	v_cvt_f16_i16_sdwa v192, sext(v192) dst_sel:DWORD dst_unused:UNUSED_PAD src0_sel:BYTE_0
	v_add_nc_u16 v190, 0xf800, v190
	v_and_b32_e32 v204, 0xf0f0f0f, v193
	global_load_dword v193, v[14:15], off
	v_add_co_u32 v14, vcc_lo, v122, s24
	v_pack_b32_f16 v192, v194, v192
	v_lshrrev_b32_e32 v194, 8, v190
	v_cvt_f16_i16_sdwa v205, sext(v190) dst_sel:DWORD dst_unused:UNUSED_PAD src0_sel:BYTE_0
	v_lshlrev_b16 v190, 8, v204
	v_add_co_ci_u32_e64 v15, null, 0, v123, vcc_lo
	v_lshrrev_b32_e32 v206, 16, v204
	v_cvt_f16_i16_sdwa v194, sext(v194) dst_sel:DWORD dst_unused:UNUSED_PAD src0_sel:BYTE_0
	v_and_b32_e32 v204, 0xf00, v204
	v_add_nc_u16 v207, 0xf800, v190
	global_load_ushort v190, v[14:15], off
	v_lshlrev_b16 v14, 8, v206
	v_mul_u32_u24_sdwa v10, v10, v185 dst_sel:DWORD dst_unused:UNUSED_PAD src0_sel:WORD_1 src1_sel:DWORD
	v_pack_b32_f16 v15, v205, v194
	v_pk_mul_f16 v192, v192, v203
	v_or_b32_sdwa v194, v204, v207 dst_sel:DWORD dst_unused:UNUSED_PAD src0_sel:DWORD src1_sel:BYTE_1
	v_and_b32_e32 v204, 0xf00, v206
	v_add_nc_u16 v14, 0xf800, v14
	v_pk_mul_f16 v15, v15, v203
	v_pk_fma_f16 v191, v192, v10, v191
	v_add_nc_u16 v192, 0xf800, v194
	v_ashrrev_i32_e32 v194, v184, v210
	v_or_b32_sdwa v14, v204, v14 dst_sel:DWORD dst_unused:UNUSED_PAD src0_sel:DWORD src1_sel:BYTE_1
	v_pk_fma_f16 v205, v15, v10, v189
	v_mul_u32_u24_sdwa v206, v11, v185 dst_sel:DWORD dst_unused:UNUSED_PAD src0_sel:WORD_0 src1_sel:DWORD
	v_lshrrev_b32_e32 v10, 8, v192
	v_and_b32_e32 v15, 0xf0f0f0f, v194
	v_add_nc_u16 v14, 0xf800, v14
	v_cvt_f16_i16_sdwa v192, sext(v192) dst_sel:DWORD dst_unused:UNUSED_PAD src0_sel:BYTE_0
	v_mul_u32_u24_e32 v194, 0x10001, v209
	v_cvt_f16_i16_sdwa v10, sext(v10) dst_sel:DWORD dst_unused:UNUSED_PAD src0_sel:BYTE_0
	v_lshlrev_b16 v189, 8, v15
	v_lshrrev_b32_e32 v203, 8, v14
	v_cvt_f16_i16_sdwa v204, sext(v14) dst_sel:DWORD dst_unused:UNUSED_PAD src0_sel:BYTE_0
	v_add_co_u32 v14, vcc_lo, v112, s24
	v_lshrrev_b32_e32 v207, 16, v15
	v_and_b32_e32 v208, 0xf00, v15
	v_add_nc_u16 v189, 0xf800, v189
	v_add_co_ci_u32_e64 v15, null, 0, v113, vcc_lo
	v_pack_b32_f16 v192, v192, v10
	v_and_b32_e32 v209, 0xf00, v207
	v_or_b32_sdwa v208, v208, v189 dst_sel:DWORD dst_unused:UNUSED_PAD src0_sel:DWORD src1_sel:BYTE_1
	global_load_dword v189, v[14:15], off
	v_add_co_u32 v14, vcc_lo, v118, s24
	v_add_co_ci_u32_e64 v15, null, 0, v119, vcc_lo
	v_lshlrev_b16 v207, 8, v207
	v_cvt_f16_i16_sdwa v203, sext(v203) dst_sel:DWORD dst_unused:UNUSED_PAD src0_sel:BYTE_0
	v_add_nc_u16 v208, 0xf800, v208
	global_load_ushort v10, v[14:15], off
	v_pk_mul_f16 v192, v192, v194
	v_add_nc_u16 v207, 0xf800, v207
	v_pack_b32_f16 v203, v204, v203
	v_lshrrev_b32_e32 v14, 8, v208
	v_mul_u32_u24_sdwa v11, v11, v185 dst_sel:DWORD dst_unused:UNUSED_PAD src0_sel:WORD_1 src1_sel:DWORD
	s_waitcnt vmcnt(12)
	v_ashrrev_i32_e32 v202, v184, v202
	v_or_b32_sdwa v15, v209, v207 dst_sel:DWORD dst_unused:UNUSED_PAD src0_sel:DWORD src1_sel:BYTE_1
	v_pk_mul_f16 v194, v203, v194
	v_cvt_f16_i16_sdwa v203, sext(v208) dst_sel:DWORD dst_unused:UNUSED_PAD src0_sel:BYTE_0
	v_cvt_f16_i16_sdwa v14, sext(v14) dst_sel:DWORD dst_unused:UNUSED_PAD src0_sel:BYTE_0
	v_pk_fma_f16 v208, v192, v206, v191
	v_add_nc_u16 v207, 0xf800, v15
	v_ashrrev_i32_e32 v15, v184, v212
	v_mul_u32_u24_e32 v209, 0x10001, v211
	v_pack_b32_f16 v210, v203, v14
	v_add_co_u32 v14, vcc_lo, v108, s24
	v_and_b32_e32 v191, 0xf0f0f0f, v15
	v_add_co_ci_u32_e64 v15, null, 0, v109, vcc_lo
	v_add_co_u32 v203, vcc_lo, v114, s24
	v_lshlrev_b16 v212, 8, v191
	v_lshrrev_b32_e32 v211, 8, v207
	v_add_co_ci_u32_e64 v204, null, 0, v115, vcc_lo
	v_lshrrev_b32_e32 v213, 16, v191
	global_load_dword v192, v[14:15], off
	v_and_b32_e32 v14, 0xf00, v191
	v_add_nc_u16 v15, 0xf800, v212
	global_load_ushort v191, v[203:204], off
	v_cvt_f16_i16_sdwa v203, sext(v207) dst_sel:DWORD dst_unused:UNUSED_PAD src0_sel:BYTE_0
	v_cvt_f16_i16_sdwa v204, sext(v211) dst_sel:DWORD dst_unused:UNUSED_PAD src0_sel:BYTE_0
	v_lshlrev_b16 v207, 8, v213
	v_or_b32_sdwa v14, v14, v15 dst_sel:DWORD dst_unused:UNUSED_PAD src0_sel:DWORD src1_sel:BYTE_1
	v_pk_mul_f16 v15, v210, v209
	v_pk_fma_f16 v205, v194, v206, v205
	v_pack_b32_f16 v203, v203, v204
	v_and_b32_e32 v204, 0xf00, v213
	v_add_nc_u16 v207, 0xf800, v207
	v_add_nc_u16 v210, 0xf800, v14
	v_add_co_u32 v14, vcc_lo, v104, s24
	v_pk_fma_f16 v206, v15, v11, v208
	v_or_b32_sdwa v194, v204, v207 dst_sel:DWORD dst_unused:UNUSED_PAD src0_sel:DWORD src1_sel:BYTE_1
	v_add_co_ci_u32_e64 v15, null, 0, v105, vcc_lo
	v_lshrrev_b32_e32 v204, 8, v210
	v_cvt_f16_i16_sdwa v207, sext(v210) dst_sel:DWORD dst_unused:UNUSED_PAD src0_sel:BYTE_0
	v_add_nc_u16 v208, 0xf800, v194
	global_load_dword v194, v[14:15], off
	v_pk_mul_f16 v203, v203, v209
	v_cvt_f16_i16_sdwa v204, sext(v204) dst_sel:DWORD dst_unused:UNUSED_PAD src0_sel:BYTE_0
	v_and_b32_e32 v202, 0xf0f0f0f, v202
	s_waitcnt vmcnt(12)
	v_mul_u32_u24_e32 v16, 0x10001, v16
	v_pk_fma_f16 v203, v203, v11, v205
	v_pack_b32_f16 v14, v207, v204
	v_lshrrev_b32_e32 v11, 8, v208
	v_cvt_f16_i16_sdwa v207, sext(v208) dst_sel:DWORD dst_unused:UNUSED_PAD src0_sel:BYTE_0
	v_lshlrev_b16 v208, 8, v202
	v_lshrrev_b32_e32 v209, 16, v202
	v_pk_mul_f16 v205, v14, v200
	v_add_co_u32 v14, vcc_lo, v110, s24
	v_cvt_f16_i16_sdwa v11, sext(v11) dst_sel:DWORD dst_unused:UNUSED_PAD src0_sel:BYTE_0
	v_add_co_ci_u32_e64 v15, null, 0, v111, vcc_lo
	v_and_b32_e32 v202, 0xf00, v202
	v_add_nc_u16 v208, 0xf800, v208
	v_pack_b32_f16 v207, v207, v11
	global_load_ushort v11, v[14:15], off
	v_add_co_u32 v14, vcc_lo, v100, s24
	v_add_co_ci_u32_e64 v15, null, 0, v101, vcc_lo
	v_pk_mul_f16 v207, v207, v200
	v_lshlrev_b16 v210, 8, v209
	v_or_b32_sdwa v202, v202, v208 dst_sel:DWORD dst_unused:UNUSED_PAD src0_sel:DWORD src1_sel:BYTE_1
	global_load_dword v200, v[14:15], off
	v_add_co_u32 v14, vcc_lo, v106, s24
	v_mul_u32_u24_sdwa v204, v12, v185 dst_sel:DWORD dst_unused:UNUSED_PAD src0_sel:WORD_0 src1_sel:DWORD
	v_and_b32_e32 v208, 0xf00, v209
	v_add_nc_u16 v209, 0xf800, v210
	v_add_nc_u16 v202, 0xf800, v202
	v_add_co_ci_u32_e64 v15, null, 0, v107, vcc_lo
	v_pk_fma_f16 v205, v205, v204, v206
	v_or_b32_sdwa v208, v208, v209 dst_sel:DWORD dst_unused:UNUSED_PAD src0_sel:DWORD src1_sel:BYTE_1
	v_mul_u32_u24_sdwa v206, v12, v185 dst_sel:DWORD dst_unused:UNUSED_PAD src0_sel:WORD_1 src1_sel:DWORD
	v_lshrrev_b32_e32 v209, 8, v202
	global_load_ushort v12, v[14:15], off
	v_ashrrev_i32_e32 v14, v184, v198
	v_mul_u32_u24_e32 v210, 0x10001, v195
	v_cvt_f16_i16_sdwa v195, sext(v202) dst_sel:DWORD dst_unused:UNUSED_PAD src0_sel:BYTE_0
	v_cvt_f16_i16_sdwa v198, sext(v209) dst_sel:DWORD dst_unused:UNUSED_PAD src0_sel:BYTE_0
	v_add_nc_u16 v208, 0xf800, v208
	v_and_b32_e32 v209, 0xf0f0f0f, v14
	v_add_co_u32 v14, vcc_lo, v96, s24
	v_add_co_ci_u32_e64 v15, null, 0, v97, vcc_lo
	v_pack_b32_f16 v195, v195, v198
	v_lshrrev_b32_e32 v202, 8, v208
	v_lshlrev_b16 v211, 8, v209
	global_load_dword v198, v[14:15], off
	v_add_co_u32 v14, vcc_lo, v102, s24
	v_and_b32_e32 v212, 0xf00, v209
	v_add_co_ci_u32_e64 v15, null, 0, v103, vcc_lo
	v_lshrrev_b32_e32 v209, 16, v209
	v_cvt_f16_i16_sdwa v208, sext(v208) dst_sel:DWORD dst_unused:UNUSED_PAD src0_sel:BYTE_0
	v_cvt_f16_i16_sdwa v202, sext(v202) dst_sel:DWORD dst_unused:UNUSED_PAD src0_sel:BYTE_0
	v_add_nc_u16 v211, 0xf800, v211
	v_pk_mul_f16 v213, v195, v210
	global_load_ushort v195, v[14:15], off
	v_lshlrev_b16 v14, 8, v209
	v_pack_b32_f16 v202, v208, v202
	v_or_b32_sdwa v211, v212, v211 dst_sel:DWORD dst_unused:UNUSED_PAD src0_sel:DWORD src1_sel:BYTE_1
	v_pk_fma_f16 v203, v207, v204, v203
	v_pk_fma_f16 v208, v213, v206, v205
	v_add_nc_u16 v207, 0xf800, v14
	v_add_co_u32 v14, vcc_lo, v92, s24
	v_pk_mul_f16 v202, v202, v210
	v_add_co_ci_u32_e64 v15, null, 0, v93, vcc_lo
	v_add_nc_u16 v204, 0xf800, v211
	v_and_b32_e32 v205, 0xf00, v209
	v_pk_fma_f16 v210, v202, v206, v203
	global_load_dword v203, v[14:15], off
	s_waitcnt vmcnt(17)
	v_ashrrev_i32_e32 v14, v184, v17
	v_lshrrev_b32_e32 v209, 8, v204
	v_or_b32_sdwa v205, v205, v207 dst_sel:DWORD dst_unused:UNUSED_PAD src0_sel:DWORD src1_sel:BYTE_1
	v_cvt_f16_i16_sdwa v202, sext(v204) dst_sel:DWORD dst_unused:UNUSED_PAD src0_sel:BYTE_0
	v_cvt_f16_i16_sdwa v204, sext(v209) dst_sel:DWORD dst_unused:UNUSED_PAD src0_sel:BYTE_0
	v_add_nc_u16 v205, 0xf800, v205
	v_mul_u32_u24_sdwa v209, v13, v185 dst_sel:DWORD dst_unused:UNUSED_PAD src0_sel:WORD_0 src1_sel:DWORD
	v_mul_u32_u24_sdwa v13, v13, v185 dst_sel:DWORD dst_unused:UNUSED_PAD src0_sel:WORD_1 src1_sel:DWORD
	v_pack_b32_f16 v17, v202, v204
	v_and_b32_e32 v204, 0xf0f0f0f, v14
	v_add_co_u32 v14, vcc_lo, v98, s24
	v_lshrrev_b32_e32 v202, 8, v205
	v_add_co_ci_u32_e64 v15, null, 0, v99, vcc_lo
	v_cvt_f16_i16_sdwa v205, sext(v205) dst_sel:DWORD dst_unused:UNUSED_PAD src0_sel:BYTE_0
	v_lshlrev_b16 v206, 8, v204
	v_cvt_f16_i16_sdwa v207, sext(v202) dst_sel:DWORD dst_unused:UNUSED_PAD src0_sel:BYTE_0
	global_load_ushort v202, v[14:15], off
	v_add_co_u32 v14, vcc_lo, v88, s24
	v_add_co_ci_u32_e64 v15, null, 0, v89, vcc_lo
	v_lshrrev_b32_e32 v211, 16, v204
	v_and_b32_e32 v204, 0xf00, v204
	v_add_nc_u16 v206, 0xf800, v206
	global_load_dword v213, v[14:15], off
	v_pk_mul_f16 v212, v17, v16
	v_pack_b32_f16 v17, v205, v207
	v_lshlrev_b16 v205, 8, v211
	v_or_b32_sdwa v204, v204, v206 dst_sel:DWORD dst_unused:UNUSED_PAD src0_sel:DWORD src1_sel:BYTE_1
	v_add_co_u32 v14, vcc_lo, v94, s24
	v_pk_mul_f16 v214, v17, v16
	v_and_b32_e32 v211, 0xf00, v211
	v_add_nc_u16 v215, 0xf800, v205
	v_add_co_ci_u32_e64 v15, null, 0, v95, vcc_lo
	v_pk_fma_f16 v212, v212, v209, v208
	v_add_co_u32 v208, vcc_lo, v84, s24
	v_add_nc_u16 v216, 0xf800, v204
	v_pk_fma_f16 v210, v214, v209, v210
	v_add_co_ci_u32_e64 v209, null, 0, v85, vcc_lo
	v_or_b32_sdwa v211, v211, v215 dst_sel:DWORD dst_unused:UNUSED_PAD src0_sel:DWORD src1_sel:BYTE_1
	s_waitcnt vmcnt(18)
	v_ashrrev_i32_e32 v201, v184, v201
	global_load_ushort v217, v[14:15], off
	ds_read_b128 v[204:207], v47 offset:32
	ds_read_b128 v[14:17], v47 offset:48
	v_lshrrev_b32_e32 v214, 8, v216
	v_cvt_f16_i16_sdwa v215, sext(v216) dst_sel:DWORD dst_unused:UNUSED_PAD src0_sel:BYTE_0
	global_load_dword v216, v[208:209], off
	v_add_nc_u16 v211, 0xf800, v211
	v_and_b32_e32 v201, 0xf0f0f0f, v201
	v_cvt_f16_i16_sdwa v214, sext(v214) dst_sel:DWORD dst_unused:UNUSED_PAD src0_sel:BYTE_0
	s_waitcnt vmcnt(19)
	v_mul_u32_u24_e32 v196, 0x10001, v196
	v_lshrrev_b32_e32 v208, 8, v211
	v_lshlrev_b16 v209, 8, v201
	v_pack_b32_f16 v214, v215, v214
	v_lshrrev_b32_e32 v218, 16, v201
	v_and_b32_e32 v201, 0xf00, v201
	v_cvt_f16_i16_sdwa v215, sext(v208) dst_sel:DWORD dst_unused:UNUSED_PAD src0_sel:BYTE_0
	v_add_co_u32 v208, vcc_lo, v90, s24
	v_add_nc_u16 v219, 0xf800, v209
	v_add_co_ci_u32_e64 v209, null, 0, v91, vcc_lo
	v_cvt_f16_i16_sdwa v211, sext(v211) dst_sel:DWORD dst_unused:UNUSED_PAD src0_sel:BYTE_0
	v_pk_mul_f16 v214, v214, v196
	v_or_b32_sdwa v201, v201, v219 dst_sel:DWORD dst_unused:UNUSED_PAD src0_sel:DWORD src1_sel:BYTE_1
	global_load_ushort v219, v[208:209], off
	v_add_co_u32 v208, vcc_lo, v80, s24
	v_pack_b32_f16 v211, v211, v215
	v_add_co_ci_u32_e64 v209, null, 0, v81, vcc_lo
	v_lshlrev_b16 v215, 8, v218
	v_add_nc_u16 v201, 0xf800, v201
	v_pk_mul_f16 v196, v211, v196
	v_and_b32_e32 v211, 0xf00, v218
	global_load_dword v218, v[208:209], off
	v_add_nc_u16 v215, 0xf800, v215
	v_add_co_u32 v208, vcc_lo, v86, s24
	v_add_co_ci_u32_e64 v209, null, 0, v87, vcc_lo
	v_pk_fma_f16 v212, v214, v13, v212
	v_or_b32_sdwa v211, v211, v215 dst_sel:DWORD dst_unused:UNUSED_PAD src0_sel:DWORD src1_sel:BYTE_1
	s_waitcnt vmcnt(20)
	v_ashrrev_i32_e32 v199, v184, v199
	v_lshrrev_b32_e32 v214, 8, v201
	global_load_ushort v215, v[208:209], off
	v_pk_fma_f16 v13, v196, v13, v210
	v_add_nc_u16 v196, 0xf800, v211
	v_and_b32_e32 v199, 0xf0f0f0f, v199
	v_cvt_f16_i16_sdwa v201, sext(v201) dst_sel:DWORD dst_unused:UNUSED_PAD src0_sel:BYTE_0
	v_cvt_f16_i16_sdwa v208, sext(v214) dst_sel:DWORD dst_unused:UNUSED_PAD src0_sel:BYTE_0
	s_waitcnt vmcnt(20)
	v_mul_u32_u24_e32 v214, 0x10001, v197
	v_lshrrev_b32_e32 v210, 8, v196
	v_lshrrev_b32_e32 v211, 16, v199
	v_lshlrev_b16 v221, 8, v199
	v_pack_b32_f16 v201, v201, v208
	v_cvt_f16_i16_sdwa v208, sext(v196) dst_sel:DWORD dst_unused:UNUSED_PAD src0_sel:BYTE_0
	v_add_co_u32 v196, vcc_lo, v76, s24
	v_add_co_ci_u32_e64 v197, null, 0, v77, vcc_lo
	v_lshlrev_b16 v220, 8, v211
	v_cvt_f16_i16_sdwa v210, sext(v210) dst_sel:DWORD dst_unused:UNUSED_PAD src0_sel:BYTE_0
	v_and_b32_e32 v211, 0xf00, v211
	global_load_dword v222, v[196:197], off
	v_add_co_u32 v196, vcc_lo, v82, s24
	v_add_nc_u16 v220, 0xf800, v220
	v_add_co_ci_u32_e64 v197, null, 0, v83, vcc_lo
	v_pack_b32_f16 v208, v208, v210
	v_and_b32_e32 v199, 0xf00, v199
	v_or_b32_sdwa v210, v211, v220 dst_sel:DWORD dst_unused:UNUSED_PAD src0_sel:DWORD src1_sel:BYTE_1
	global_load_ushort v211, v[196:197], off
	v_add_co_u32 v196, vcc_lo, v72, s24
	v_add_co_ci_u32_e64 v197, null, 0, v73, vcc_lo
	v_add_nc_u16 v221, 0xf800, v221
	v_pk_mul_f16 v201, v201, v214
	v_pk_mul_f16 v208, v208, v214
	global_load_dword v214, v[196:197], off
	v_add_nc_u16 v210, 0xf800, v210
	v_or_b32_sdwa v199, v199, v221 dst_sel:DWORD dst_unused:UNUSED_PAD src0_sel:DWORD src1_sel:BYTE_1
	s_waitcnt lgkmcnt(1)
	v_mul_u32_u24_sdwa v209, v204, v185 dst_sel:DWORD dst_unused:UNUSED_PAD src0_sel:WORD_0 src1_sel:DWORD
	s_waitcnt vmcnt(22)
	v_ashrrev_i32_e32 v193, v184, v193
	v_mul_u32_u24_sdwa v204, v204, v185 dst_sel:DWORD dst_unused:UNUSED_PAD src0_sel:WORD_1 src1_sel:DWORD
	v_lshrrev_b32_e32 v197, 8, v210
	v_add_nc_u16 v199, 0xf800, v199
	v_pk_fma_f16 v13, v208, v209, v13
	v_and_b32_e32 v193, 0xf0f0f0f, v193
	v_cvt_f16_i16_sdwa v208, sext(v210) dst_sel:DWORD dst_unused:UNUSED_PAD src0_sel:BYTE_0
	v_cvt_f16_i16_sdwa v197, sext(v197) dst_sel:DWORD dst_unused:UNUSED_PAD src0_sel:BYTE_0
	v_lshrrev_b32_e32 v196, 8, v199
	v_cvt_f16_i16_sdwa v199, sext(v199) dst_sel:DWORD dst_unused:UNUSED_PAD src0_sel:BYTE_0
	v_pk_fma_f16 v201, v201, v209, v212
	v_lshrrev_b32_e32 v209, 16, v193
	v_pack_b32_f16 v208, v208, v197
	v_cvt_f16_i16_sdwa v196, sext(v196) dst_sel:DWORD dst_unused:UNUSED_PAD src0_sel:BYTE_0
	s_waitcnt vmcnt(21)
	v_mul_u32_u24_e32 v190, 0x10001, v190
	v_lshlrev_b16 v212, 8, v193
	v_and_b32_e32 v210, 0xf00, v209
	v_lshlrev_b16 v209, 8, v209
	v_pack_b32_f16 v199, v199, v196
	v_add_co_u32 v196, vcc_lo, v78, s24
	v_add_co_ci_u32_e64 v197, null, 0, v79, vcc_lo
	v_add_nc_u16 v209, 0xf800, v209
	v_pk_mul_f16 v199, v199, v190
	v_pk_mul_f16 v190, v208, v190
	global_load_ushort v220, v[196:197], off
	v_add_co_u32 v196, vcc_lo, v68, s24
	v_add_co_ci_u32_e64 v197, null, 0, v69, vcc_lo
	v_add_co_u32 v208, vcc_lo, v74, s24
	v_or_b32_sdwa v210, v210, v209 dst_sel:DWORD dst_unused:UNUSED_PAD src0_sel:DWORD src1_sel:BYTE_1
	v_add_co_ci_u32_e64 v209, null, 0, v75, vcc_lo
	v_pk_fma_f16 v199, v199, v204, v201
	global_load_dword v201, v[196:197], off
	v_add_co_u32 v196, vcc_lo, v64, s24
	global_load_ushort v208, v[208:209], off
	v_add_co_ci_u32_e64 v197, null, 0, v65, vcc_lo
	v_and_b32_e32 v193, 0xf00, v193
	v_add_nc_u16 v212, 0xf800, v212
	v_add_nc_u16 v210, 0xf800, v210
	global_load_dword v196, v[196:197], off
	s_waitcnt vmcnt(24)
	v_ashrrev_i32_e32 v189, v184, v189
	v_pk_fma_f16 v13, v190, v204, v13
	v_or_b32_sdwa v193, v193, v212 dst_sel:DWORD dst_unused:UNUSED_PAD src0_sel:DWORD src1_sel:BYTE_1
	v_lshrrev_b32_e32 v212, 8, v210
	v_and_b32_e32 v189, 0xf0f0f0f, v189
	s_waitcnt vmcnt(23)
	v_mul_u32_u24_e32 v10, 0x10001, v10
	v_add_nc_u16 v193, 0xf800, v193
	v_lshrrev_b32_e32 v209, 8, v193
	v_cvt_f16_i16_sdwa v193, sext(v193) dst_sel:DWORD dst_unused:UNUSED_PAD src0_sel:BYTE_0
	v_cvt_f16_i16_sdwa v197, sext(v209) dst_sel:DWORD dst_unused:UNUSED_PAD src0_sel:BYTE_0
	;; [unrolled: 1-line block ×4, first 2 shown]
	v_lshrrev_b32_e32 v212, 16, v189
	v_pack_b32_f16 v193, v193, v197
	v_mul_u32_u24_sdwa v197, v205, v185 dst_sel:DWORD dst_unused:UNUSED_PAD src0_sel:WORD_0 src1_sel:DWORD
	v_pack_b32_f16 v190, v209, v210
	v_lshlrev_b16 v209, 8, v189
	v_lshlrev_b16 v204, 8, v212
	v_pk_mul_f16 v193, v193, v10
	v_and_b32_e32 v189, 0xf00, v189
	v_pk_mul_f16 v10, v190, v10
	v_add_nc_u16 v209, 0xf800, v209
	v_and_b32_e32 v190, 0xf00, v212
	v_add_nc_u16 v204, 0xf800, v204
	v_pk_fma_f16 v193, v193, v197, v199
	v_pk_fma_f16 v10, v10, v197, v13
	v_or_b32_sdwa v199, v189, v209 dst_sel:DWORD dst_unused:UNUSED_PAD src0_sel:DWORD src1_sel:BYTE_1
	v_add_co_u32 v189, vcc_lo, v70, s24
	v_or_b32_sdwa v197, v190, v204 dst_sel:DWORD dst_unused:UNUSED_PAD src0_sel:DWORD src1_sel:BYTE_1
	v_add_co_ci_u32_e64 v190, null, 0, v71, vcc_lo
	s_waitcnt vmcnt(22)
	v_ashrrev_i32_e32 v192, v184, v192
	v_add_nc_u16 v199, 0xf800, v199
	v_add_nc_u16 v197, 0xf800, v197
	global_load_ushort v204, v[189:190], off
	v_add_co_u32 v189, vcc_lo, v66, s24
	v_add_co_ci_u32_e64 v190, null, 0, v67, vcc_lo
	v_and_b32_e32 v192, 0xf0f0f0f, v192
	v_mul_u32_u24_sdwa v13, v205, v185 dst_sel:DWORD dst_unused:UNUSED_PAD src0_sel:WORD_1 src1_sel:DWORD
	v_lshrrev_b32_e32 v205, 8, v199
	global_load_ushort v189, v[189:190], off
	v_lshrrev_b32_e32 v209, 8, v197
	v_lshlrev_b16 v210, 8, v192
	v_lshrrev_b32_e32 v190, 16, v192
	v_cvt_f16_i16_sdwa v199, sext(v199) dst_sel:DWORD dst_unused:UNUSED_PAD src0_sel:BYTE_0
	v_cvt_f16_i16_sdwa v205, sext(v205) dst_sel:DWORD dst_unused:UNUSED_PAD src0_sel:BYTE_0
	;; [unrolled: 1-line block ×4, first 2 shown]
	v_and_b32_e32 v192, 0xf00, v192
	v_add_nc_u16 v210, 0xf800, v210
	v_lshlrev_b16 v212, 8, v190
	s_waitcnt vmcnt(23)
	v_mul_u32_u24_e32 v191, 0x10001, v191
	v_pack_b32_f16 v199, v199, v205
	v_pack_b32_f16 v197, v197, v209
	v_and_b32_e32 v190, 0xf00, v190
	v_or_b32_sdwa v192, v192, v210 dst_sel:DWORD dst_unused:UNUSED_PAD src0_sel:DWORD src1_sel:BYTE_1
	v_add_nc_u16 v205, 0xf800, v212
	s_waitcnt vmcnt(22)
	v_ashrrev_i32_e32 v194, v184, v194
	v_pk_mul_f16 v199, v199, v191
	v_pk_mul_f16 v191, v197, v191
	v_add_nc_u16 v192, 0xf800, v192
	v_or_b32_sdwa v190, v190, v205 dst_sel:DWORD dst_unused:UNUSED_PAD src0_sel:DWORD src1_sel:BYTE_1
	v_and_b32_e32 v194, 0xf0f0f0f, v194
	v_pk_fma_f16 v193, v199, v13, v193
	v_pk_fma_f16 v10, v191, v13, v10
	v_lshrrev_b32_e32 v13, 8, v192
	v_add_nc_u16 v190, 0xf800, v190
	v_lshlrev_b16 v197, 8, v194
	v_cvt_f16_i16_sdwa v192, sext(v192) dst_sel:DWORD dst_unused:UNUSED_PAD src0_sel:BYTE_0
	v_and_b32_e32 v205, 0xf00, v194
	v_cvt_f16_i16_sdwa v13, sext(v13) dst_sel:DWORD dst_unused:UNUSED_PAD src0_sel:BYTE_0
	v_lshrrev_b32_e32 v199, 8, v190
	v_add_nc_u16 v197, 0xf800, v197
	v_lshrrev_b32_e32 v194, 16, v194
	v_cvt_f16_i16_sdwa v190, sext(v190) dst_sel:DWORD dst_unused:UNUSED_PAD src0_sel:BYTE_0
	s_waitcnt vmcnt(21)
	v_mul_u32_u24_e32 v11, 0x10001, v11
	v_cvt_f16_i16_sdwa v199, sext(v199) dst_sel:DWORD dst_unused:UNUSED_PAD src0_sel:BYTE_0
	v_or_b32_sdwa v197, v205, v197 dst_sel:DWORD dst_unused:UNUSED_PAD src0_sel:DWORD src1_sel:BYTE_1
	v_lshlrev_b16 v205, 8, v194
	v_pack_b32_f16 v13, v192, v13
	v_mul_u32_u24_sdwa v191, v206, v185 dst_sel:DWORD dst_unused:UNUSED_PAD src0_sel:WORD_0 src1_sel:DWORD
	v_pack_b32_f16 v190, v190, v199
	v_and_b32_e32 v192, 0xf00, v194
	v_add_nc_u16 v194, 0xf800, v197
	v_add_nc_u16 v197, 0xf800, v205
	v_pk_mul_f16 v13, v13, v11
	s_waitcnt vmcnt(20)
	v_ashrrev_i32_e32 v199, v184, v200
	v_pk_mul_f16 v11, v190, v11
	v_lshrrev_b32_e32 v190, 8, v194
	v_or_b32_sdwa v192, v192, v197 dst_sel:DWORD dst_unused:UNUSED_PAD src0_sel:DWORD src1_sel:BYTE_1
	v_pk_fma_f16 v13, v13, v191, v193
	v_and_b32_e32 v193, 0xf0f0f0f, v199
	v_cvt_f16_i16_sdwa v194, sext(v194) dst_sel:DWORD dst_unused:UNUSED_PAD src0_sel:BYTE_0
	v_cvt_f16_i16_sdwa v190, sext(v190) dst_sel:DWORD dst_unused:UNUSED_PAD src0_sel:BYTE_0
	v_add_nc_u16 v192, 0xf800, v192
	v_pk_fma_f16 v10, v11, v191, v10
	v_lshlrev_b16 v11, 8, v193
	s_waitcnt vmcnt(19)
	v_mul_u32_u24_e32 v12, 0x10001, v12
	v_pack_b32_f16 v190, v194, v190
	v_lshrrev_b32_e32 v191, 8, v192
	v_and_b32_e32 v194, 0xf00, v193
	v_add_nc_u16 v11, 0xf800, v11
	v_lshrrev_b32_e32 v193, 16, v193
	v_cvt_f16_i16_sdwa v192, sext(v192) dst_sel:DWORD dst_unused:UNUSED_PAD src0_sel:BYTE_0
	v_cvt_f16_i16_sdwa v191, sext(v191) dst_sel:DWORD dst_unused:UNUSED_PAD src0_sel:BYTE_0
	v_mul_u32_u24_sdwa v197, v206, v185 dst_sel:DWORD dst_unused:UNUSED_PAD src0_sel:WORD_1 src1_sel:DWORD
	v_or_b32_sdwa v11, v194, v11 dst_sel:DWORD dst_unused:UNUSED_PAD src0_sel:DWORD src1_sel:BYTE_1
	v_lshlrev_b16 v194, 8, v193
	v_pk_mul_f16 v190, v190, v12
	v_pack_b32_f16 v191, v192, v191
	v_and_b32_e32 v192, 0xf00, v193
	v_add_nc_u16 v11, 0xf800, v11
	v_add_nc_u16 v193, 0xf800, v194
	s_waitcnt vmcnt(18)
	v_ashrrev_i32_e32 v194, v184, v198
	v_pk_mul_f16 v12, v191, v12
	v_pk_fma_f16 v13, v190, v197, v13
	v_lshrrev_b32_e32 v190, 8, v11
	v_or_b32_sdwa v191, v192, v193 dst_sel:DWORD dst_unused:UNUSED_PAD src0_sel:DWORD src1_sel:BYTE_1
	v_and_b32_e32 v192, 0xf0f0f0f, v194
	v_pk_fma_f16 v10, v12, v197, v10
	v_cvt_f16_i16_sdwa v11, sext(v11) dst_sel:DWORD dst_unused:UNUSED_PAD src0_sel:BYTE_0
	v_cvt_f16_i16_sdwa v12, sext(v190) dst_sel:DWORD dst_unused:UNUSED_PAD src0_sel:BYTE_0
	v_add_nc_u16 v190, 0xf800, v191
	v_lshrrev_b32_e32 v191, 16, v192
	v_lshlrev_b16 v194, 8, v192
	s_waitcnt vmcnt(17)
	v_mul_u32_u24_e32 v193, 0x10001, v195
	v_pack_b32_f16 v11, v11, v12
	v_lshrrev_b32_e32 v12, 8, v190
	v_lshlrev_b16 v195, 8, v191
	v_and_b32_e32 v192, 0xf00, v192
	v_add_nc_u16 v194, 0xf800, v194
	v_cvt_f16_i16_sdwa v190, sext(v190) dst_sel:DWORD dst_unused:UNUSED_PAD src0_sel:BYTE_0
	v_cvt_f16_i16_sdwa v12, sext(v12) dst_sel:DWORD dst_unused:UNUSED_PAD src0_sel:BYTE_0
	v_and_b32_e32 v191, 0xf00, v191
	v_add_nc_u16 v195, 0xf800, v195
	v_or_b32_sdwa v192, v192, v194 dst_sel:DWORD dst_unused:UNUSED_PAD src0_sel:DWORD src1_sel:BYTE_1
	v_mul_u32_u24_sdwa v194, v207, v185 dst_sel:DWORD dst_unused:UNUSED_PAD src0_sel:WORD_0 src1_sel:DWORD
	v_pack_b32_f16 v12, v190, v12
	v_pk_mul_f16 v11, v11, v193
	v_or_b32_sdwa v190, v191, v195 dst_sel:DWORD dst_unused:UNUSED_PAD src0_sel:DWORD src1_sel:BYTE_1
	v_add_nc_u16 v191, 0xf800, v192
	s_waitcnt vmcnt(16)
	v_ashrrev_i32_e32 v192, v184, v203
	v_pk_mul_f16 v12, v12, v193
	v_pk_fma_f16 v11, v11, v194, v13
	v_add_nc_u16 v13, 0xf800, v190
	v_lshrrev_b32_e32 v190, 8, v191
	v_and_b32_e32 v192, 0xf0f0f0f, v192
	v_cvt_f16_i16_sdwa v191, sext(v191) dst_sel:DWORD dst_unused:UNUSED_PAD src0_sel:BYTE_0
	s_waitcnt vmcnt(15)
	v_mul_u32_u24_e32 v199, 0x10001, v202
	v_lshrrev_b32_e32 v195, 8, v13
	v_cvt_f16_i16_sdwa v190, sext(v190) dst_sel:DWORD dst_unused:UNUSED_PAD src0_sel:BYTE_0
	v_lshlrev_b16 v197, 8, v192
	v_lshrrev_b32_e32 v198, 16, v192
	v_and_b32_e32 v192, 0xf00, v192
	v_cvt_f16_i16_sdwa v13, sext(v13) dst_sel:DWORD dst_unused:UNUSED_PAD src0_sel:BYTE_0
	v_cvt_f16_i16_sdwa v195, sext(v195) dst_sel:DWORD dst_unused:UNUSED_PAD src0_sel:BYTE_0
	v_add_nc_u16 v197, 0xf800, v197
	v_lshlrev_b16 v200, 8, v198
	v_pack_b32_f16 v190, v191, v190
	v_mul_u32_u24_sdwa v193, v207, v185 dst_sel:DWORD dst_unused:UNUSED_PAD src0_sel:WORD_1 src1_sel:DWORD
	v_pack_b32_f16 v13, v13, v195
	v_or_b32_sdwa v191, v192, v197 dst_sel:DWORD dst_unused:UNUSED_PAD src0_sel:DWORD src1_sel:BYTE_1
	v_and_b32_e32 v192, 0xf00, v198
	v_add_nc_u16 v195, 0xf800, v200
	v_pk_mul_f16 v190, v190, v199
	v_pk_fma_f16 v10, v12, v194, v10
	v_add_nc_u16 v12, 0xf800, v191
	v_pk_mul_f16 v13, v13, v199
	v_or_b32_sdwa v191, v192, v195 dst_sel:DWORD dst_unused:UNUSED_PAD src0_sel:DWORD src1_sel:BYTE_1
	v_pk_fma_f16 v11, v190, v193, v11
	s_waitcnt vmcnt(14)
	v_ashrrev_i32_e32 v190, v184, v213
	v_lshrrev_b32_e32 v192, 8, v12
	v_pk_fma_f16 v10, v13, v193, v10
	v_add_nc_u16 v13, 0xf800, v191
	v_cvt_f16_i16_sdwa v12, sext(v12) dst_sel:DWORD dst_unused:UNUSED_PAD src0_sel:BYTE_0
	v_and_b32_e32 v190, 0xf0f0f0f, v190
	v_cvt_f16_i16_sdwa v191, sext(v192) dst_sel:DWORD dst_unused:UNUSED_PAD src0_sel:BYTE_0
	s_waitcnt vmcnt(13)
	v_mul_u32_u24_e32 v193, 0x10001, v217
	v_lshrrev_b32_e32 v194, 8, v13
	v_cvt_f16_i16_sdwa v13, sext(v13) dst_sel:DWORD dst_unused:UNUSED_PAD src0_sel:BYTE_0
	v_lshrrev_b32_e32 v195, 16, v190
	v_pack_b32_f16 v12, v12, v191
	v_lshlrev_b16 v191, 8, v190
	v_cvt_f16_i16_sdwa v194, sext(v194) dst_sel:DWORD dst_unused:UNUSED_PAD src0_sel:BYTE_0
	v_and_b32_e32 v190, 0xf00, v190
	s_waitcnt lgkmcnt(0)
	v_mul_u32_u24_sdwa v192, v14, v185 dst_sel:DWORD dst_unused:UNUSED_PAD src0_sel:WORD_0 src1_sel:DWORD
	v_lshlrev_b16 v197, 8, v195
	v_add_nc_u16 v191, 0xf800, v191
	v_pack_b32_f16 v13, v13, v194
	v_pk_mul_f16 v12, v12, v193
	v_and_b32_e32 v194, 0xf00, v195
	v_add_nc_u16 v195, 0xf800, v197
	v_or_b32_sdwa v190, v190, v191 dst_sel:DWORD dst_unused:UNUSED_PAD src0_sel:DWORD src1_sel:BYTE_1
	s_waitcnt vmcnt(12)
	v_ashrrev_i32_e32 v191, v184, v216
	v_pk_mul_f16 v13, v13, v193
	v_pk_fma_f16 v11, v12, v192, v11
	v_or_b32_sdwa v12, v194, v195 dst_sel:DWORD dst_unused:UNUSED_PAD src0_sel:DWORD src1_sel:BYTE_1
	v_add_nc_u16 v190, 0xf800, v190
	v_and_b32_e32 v191, 0xf0f0f0f, v191
	v_pk_fma_f16 v10, v13, v192, v10
	v_mul_u32_u24_sdwa v13, v14, v185 dst_sel:DWORD dst_unused:UNUSED_PAD src0_sel:WORD_1 src1_sel:DWORD
	v_add_nc_u16 v12, 0xf800, v12
	v_lshrrev_b32_e32 v14, 8, v190
	v_lshlrev_b16 v192, 8, v191
	v_lshrrev_b32_e32 v193, 16, v191
	v_and_b32_e32 v191, 0xf00, v191
	v_cvt_f16_i16_sdwa v190, sext(v190) dst_sel:DWORD dst_unused:UNUSED_PAD src0_sel:BYTE_0
	v_cvt_f16_i16_sdwa v14, sext(v14) dst_sel:DWORD dst_unused:UNUSED_PAD src0_sel:BYTE_0
	v_add_nc_u16 v192, 0xf800, v192
	v_lshlrev_b16 v195, 8, v193
	v_lshrrev_b32_e32 v194, 8, v12
	v_cvt_f16_i16_sdwa v12, sext(v12) dst_sel:DWORD dst_unused:UNUSED_PAD src0_sel:BYTE_0
	v_pack_b32_f16 v14, v190, v14
	v_or_b32_sdwa v191, v191, v192 dst_sel:DWORD dst_unused:UNUSED_PAD src0_sel:DWORD src1_sel:BYTE_1
	v_and_b32_e32 v192, 0xf00, v193
	v_add_nc_u16 v193, 0xf800, v195
	v_cvt_f16_i16_sdwa v194, sext(v194) dst_sel:DWORD dst_unused:UNUSED_PAD src0_sel:BYTE_0
	s_waitcnt vmcnt(11)
	v_mul_u32_u24_e32 v195, 0x10001, v219
	v_add_nc_u16 v190, 0xf800, v191
	v_add_co_u32 v48, vcc_lo, v48, s9
	v_or_b32_sdwa v191, v192, v193 dst_sel:DWORD dst_unused:UNUSED_PAD src0_sel:DWORD src1_sel:BYTE_1
	s_waitcnt vmcnt(10)
	v_ashrrev_i32_e32 v192, v184, v218
	v_lshrrev_b32_e32 v193, 8, v190
	v_pack_b32_f16 v12, v12, v194
	v_cvt_f16_i16_sdwa v190, sext(v190) dst_sel:DWORD dst_unused:UNUSED_PAD src0_sel:BYTE_0
	v_add_nc_u16 v191, 0xf800, v191
	v_and_b32_e32 v192, 0xf0f0f0f, v192
	v_cvt_f16_i16_sdwa v193, sext(v193) dst_sel:DWORD dst_unused:UNUSED_PAD src0_sel:BYTE_0
	v_add_co_ci_u32_e64 v49, null, 0, v49, vcc_lo
	v_add_co_u32 v34, vcc_lo, v34, s14
	v_lshrrev_b32_e32 v194, 16, v192
	v_pk_mul_f16 v14, v14, v195
	v_pk_mul_f16 v12, v12, v195
	v_lshrrev_b32_e32 v195, 8, v191
	v_pack_b32_f16 v190, v190, v193
	v_lshlrev_b16 v193, 8, v192
	v_lshlrev_b16 v197, 8, v194
	v_add_co_ci_u32_e64 v35, null, s15, v35, vcc_lo
	v_add_co_u32 v50, vcc_lo, v50, s10
	v_add_co_ci_u32_e64 v51, null, 0, v51, vcc_lo
	v_add_co_u32 v52, vcc_lo, v52, s9
	v_pk_fma_f16 v11, v14, v13, v11
	s_waitcnt vmcnt(9)
	v_mul_u32_u24_e32 v14, 0x10001, v215
	v_cvt_f16_i16_sdwa v191, sext(v191) dst_sel:DWORD dst_unused:UNUSED_PAD src0_sel:BYTE_0
	v_cvt_f16_i16_sdwa v195, sext(v195) dst_sel:DWORD dst_unused:UNUSED_PAD src0_sel:BYTE_0
	v_and_b32_e32 v192, 0xf00, v192
	v_add_nc_u16 v193, 0xf800, v193
	v_and_b32_e32 v194, 0xf00, v194
	v_add_nc_u16 v197, 0xf800, v197
	v_add_co_ci_u32_e64 v53, null, 0, v53, vcc_lo
	v_add_co_u32 v54, vcc_lo, v54, s9
	v_add_co_ci_u32_e64 v55, null, 0, v55, vcc_lo
	v_add_co_u32 v56, vcc_lo, v56, s10
	;; [unrolled: 2-line block ×3, first 2 shown]
	v_mul_u32_u24_sdwa v198, v15, v185 dst_sel:DWORD dst_unused:UNUSED_PAD src0_sel:WORD_0 src1_sel:DWORD
	v_pack_b32_f16 v191, v191, v195
	v_or_b32_sdwa v192, v192, v193 dst_sel:DWORD dst_unused:UNUSED_PAD src0_sel:DWORD src1_sel:BYTE_1
	v_pk_mul_f16 v190, v190, v14
	v_or_b32_sdwa v193, v194, v197 dst_sel:DWORD dst_unused:UNUSED_PAD src0_sel:DWORD src1_sel:BYTE_1
	v_add_co_ci_u32_e64 v59, null, 0, v59, vcc_lo
	v_add_co_u32 v60, vcc_lo, v60, s10
	v_add_co_ci_u32_e64 v61, null, 0, v61, vcc_lo
	v_add_co_u32 v62, vcc_lo, v62, s9
	v_pk_fma_f16 v10, v12, v13, v10
	v_pk_mul_f16 v12, v191, v14
	v_add_nc_u16 v13, 0xf800, v192
	v_pk_fma_f16 v11, v190, v198, v11
	v_add_nc_u16 v14, 0xf800, v193
	s_waitcnt vmcnt(8)
	v_ashrrev_i32_e32 v190, v184, v222
	v_add_co_ci_u32_e64 v63, null, 0, v63, vcc_lo
	v_add_co_u32 v64, vcc_lo, v64, s10
	v_add_co_ci_u32_e64 v65, null, 0, v65, vcc_lo
	v_add_co_u32 v66, vcc_lo, v66, s10
	;; [unrolled: 2-line block ×3, first 2 shown]
	v_pk_fma_f16 v10, v12, v198, v10
	v_lshrrev_b32_e32 v12, 8, v13
	v_lshrrev_b32_e32 v191, 8, v14
	v_and_b32_e32 v190, 0xf0f0f0f, v190
	v_add_co_ci_u32_e64 v69, null, 0, v69, vcc_lo
	v_add_co_u32 v70, vcc_lo, v70, s10
	v_add_co_ci_u32_e64 v71, null, 0, v71, vcc_lo
	v_add_co_u32 v72, vcc_lo, v72, s10
	v_cvt_f16_i16_sdwa v13, sext(v13) dst_sel:DWORD dst_unused:UNUSED_PAD src0_sel:BYTE_0
	v_cvt_f16_i16_sdwa v12, sext(v12) dst_sel:DWORD dst_unused:UNUSED_PAD src0_sel:BYTE_0
	;; [unrolled: 1-line block ×4, first 2 shown]
	v_lshrrev_b32_e32 v192, 16, v190
	v_lshlrev_b16 v194, 8, v190
	v_add_co_ci_u32_e64 v73, null, 0, v73, vcc_lo
	v_add_co_u32 v74, vcc_lo, v74, s10
	v_add_co_ci_u32_e64 v75, null, 0, v75, vcc_lo
	v_add_co_u32 v76, vcc_lo, v76, s10
	;; [unrolled: 2-line block ×3, first 2 shown]
	s_waitcnt vmcnt(7)
	v_mul_u32_u24_e32 v193, 0x10001, v211
	v_pack_b32_f16 v12, v13, v12
	v_pack_b32_f16 v13, v14, v191
	v_lshlrev_b16 v14, 8, v192
	v_and_b32_e32 v190, 0xf00, v190
	v_add_nc_u16 v191, 0xf800, v194
	s_waitcnt vmcnt(6)
	v_ashrrev_i32_e32 v194, v184, v214
	v_add_co_ci_u32_e64 v79, null, 0, v79, vcc_lo
	v_add_co_u32 v80, vcc_lo, v80, s10
	v_add_co_ci_u32_e64 v81, null, 0, v81, vcc_lo
	v_add_co_u32 v82, vcc_lo, v82, s10
	v_mul_u32_u24_sdwa v15, v15, v185 dst_sel:DWORD dst_unused:UNUSED_PAD src0_sel:WORD_1 src1_sel:DWORD
	v_and_b32_e32 v192, 0xf00, v192
	v_add_nc_u16 v14, 0xf800, v14
	v_or_b32_sdwa v190, v190, v191 dst_sel:DWORD dst_unused:UNUSED_PAD src0_sel:DWORD src1_sel:BYTE_1
	v_pk_mul_f16 v13, v13, v193
	v_and_b32_e32 v191, 0xf0f0f0f, v194
	v_add_co_ci_u32_e64 v83, null, 0, v83, vcc_lo
	v_add_co_u32 v84, vcc_lo, v84, s10
	v_add_co_ci_u32_e64 v85, null, 0, v85, vcc_lo
	v_add_co_u32 v86, vcc_lo, v86, s10
	;; [unrolled: 2-line block ×3, first 2 shown]
	v_pk_mul_f16 v12, v12, v193
	v_or_b32_sdwa v14, v192, v14 dst_sel:DWORD dst_unused:UNUSED_PAD src0_sel:DWORD src1_sel:BYTE_1
	v_pk_fma_f16 v10, v13, v15, v10
	v_lshrrev_b32_e32 v13, 16, v191
	v_add_co_ci_u32_e64 v89, null, 0, v89, vcc_lo
	v_add_co_u32 v90, vcc_lo, v90, s10
	v_add_co_ci_u32_e64 v91, null, 0, v91, vcc_lo
	v_add_co_u32 v92, vcc_lo, v92, s10
	v_pk_fma_f16 v11, v12, v15, v11
	v_add_nc_u16 v12, 0xf800, v190
	v_add_nc_u16 v14, 0xf800, v14
	v_lshlrev_b16 v15, 8, v191
	v_lshlrev_b16 v192, 8, v13
	v_add_co_ci_u32_e64 v93, null, 0, v93, vcc_lo
	v_add_co_u32 v94, vcc_lo, v94, s10
	v_add_co_ci_u32_e64 v95, null, 0, v95, vcc_lo
	v_add_co_u32 v96, vcc_lo, v96, s10
	;; [unrolled: 2-line block ×3, first 2 shown]
	v_lshrrev_b32_e32 v190, 8, v12
	v_and_b32_e32 v191, 0xf00, v191
	v_add_nc_u16 v15, 0xf800, v15
	v_lshrrev_b32_e32 v193, 8, v14
	v_and_b32_e32 v13, 0xf00, v13
	v_add_nc_u16 v192, 0xf800, v192
	v_add_co_ci_u32_e64 v99, null, 0, v99, vcc_lo
	v_add_co_u32 v100, vcc_lo, v100, s10
	v_add_co_ci_u32_e64 v101, null, 0, v101, vcc_lo
	v_add_co_u32 v102, vcc_lo, v102, s10
	v_cvt_f16_i16_sdwa v12, sext(v12) dst_sel:DWORD dst_unused:UNUSED_PAD src0_sel:BYTE_0
	v_cvt_f16_i16_sdwa v190, sext(v190) dst_sel:DWORD dst_unused:UNUSED_PAD src0_sel:BYTE_0
	v_or_b32_sdwa v15, v191, v15 dst_sel:DWORD dst_unused:UNUSED_PAD src0_sel:DWORD src1_sel:BYTE_1
	v_cvt_f16_i16_sdwa v14, sext(v14) dst_sel:DWORD dst_unused:UNUSED_PAD src0_sel:BYTE_0
	v_cvt_f16_i16_sdwa v191, sext(v193) dst_sel:DWORD dst_unused:UNUSED_PAD src0_sel:BYTE_0
	v_or_b32_sdwa v13, v13, v192 dst_sel:DWORD dst_unused:UNUSED_PAD src0_sel:DWORD src1_sel:BYTE_1
	v_add_co_ci_u32_e64 v103, null, 0, v103, vcc_lo
	v_add_co_u32 v104, vcc_lo, v104, s10
	v_add_co_ci_u32_e64 v105, null, 0, v105, vcc_lo
	v_add_co_u32 v106, vcc_lo, v106, s10
	;; [unrolled: 2-line block ×3, first 2 shown]
	s_waitcnt vmcnt(5)
	v_mul_u32_u24_e32 v192, 0x10001, v220
	v_add_nc_u16 v15, 0xf800, v15
	v_pack_b32_f16 v12, v12, v190
	v_pack_b32_f16 v14, v14, v191
	v_add_nc_u16 v13, 0xf800, v13
	v_add_co_ci_u32_e64 v109, null, 0, v109, vcc_lo
	v_add_co_u32 v110, vcc_lo, v110, s10
	v_add_co_ci_u32_e64 v111, null, 0, v111, vcc_lo
	v_add_co_u32 v112, vcc_lo, v112, s10
	v_lshrrev_b32_e32 v191, 8, v15
	v_pk_mul_f16 v12, v12, v192
	v_pk_mul_f16 v14, v14, v192
	v_lshrrev_b32_e32 v192, 8, v13
	v_add_co_ci_u32_e64 v113, null, 0, v113, vcc_lo
	v_add_co_u32 v114, vcc_lo, v114, s10
	v_add_co_ci_u32_e64 v115, null, 0, v115, vcc_lo
	v_add_co_u32 v116, vcc_lo, v116, s10
	;; [unrolled: 2-line block ×3, first 2 shown]
	v_mul_u32_u24_sdwa v190, v16, v185 dst_sel:DWORD dst_unused:UNUSED_PAD src0_sel:WORD_0 src1_sel:DWORD
	v_cvt_f16_i16_sdwa v15, sext(v15) dst_sel:DWORD dst_unused:UNUSED_PAD src0_sel:BYTE_0
	v_cvt_f16_i16_sdwa v191, sext(v191) dst_sel:DWORD dst_unused:UNUSED_PAD src0_sel:BYTE_0
	;; [unrolled: 1-line block ×3, first 2 shown]
	s_waitcnt vmcnt(4)
	v_ashrrev_i32_e32 v193, v184, v201
	v_cvt_f16_i16_sdwa v192, sext(v192) dst_sel:DWORD dst_unused:UNUSED_PAD src0_sel:BYTE_0
	v_add_co_ci_u32_e64 v119, null, 0, v119, vcc_lo
	v_add_co_u32 v120, vcc_lo, v120, s10
	v_add_co_ci_u32_e64 v121, null, 0, v121, vcc_lo
	v_add_co_u32 v122, vcc_lo, v122, s10
	v_pk_fma_f16 v11, v12, v190, v11
	s_waitcnt vmcnt(3)
	v_mul_u32_u24_e32 v12, 0x10001, v208
	v_pack_b32_f16 v15, v15, v191
	v_and_b32_e32 v191, 0xf0f0f0f, v193
	v_pack_b32_f16 v13, v13, v192
	v_add_co_ci_u32_e64 v123, null, 0, v123, vcc_lo
	v_add_co_u32 v124, vcc_lo, v124, s10
	v_add_co_ci_u32_e64 v125, null, 0, v125, vcc_lo
	v_add_co_u32 v126, vcc_lo, v126, s10
	v_add_co_ci_u32_e64 v127, null, 0, v127, vcc_lo
	v_add_co_u32 v128, vcc_lo, v128, s10
	v_pk_fma_f16 v10, v14, v190, v10
	v_mul_u32_u24_sdwa v14, v16, v185 dst_sel:DWORD dst_unused:UNUSED_PAD src0_sel:WORD_1 src1_sel:DWORD
	v_pk_mul_f16 v15, v15, v12
	v_lshrrev_b32_e32 v16, 16, v191
	v_pk_mul_f16 v12, v13, v12
	s_waitcnt vmcnt(2)
	v_ashrrev_i32_e32 v13, v184, v196
	v_add_co_ci_u32_e64 v129, null, 0, v129, vcc_lo
	v_add_co_u32 v130, vcc_lo, v130, s10
	v_add_co_ci_u32_e64 v131, null, 0, v131, vcc_lo
	v_add_co_u32 v132, vcc_lo, v132, s10
	v_lshlrev_b16 v190, 8, v191
	v_pk_fma_f16 v11, v15, v14, v11
	v_lshlrev_b16 v15, 8, v16
	v_and_b32_e32 v13, 0xf0f0f0f, v13
	v_add_co_ci_u32_e64 v133, null, 0, v133, vcc_lo
	v_add_co_u32 v134, vcc_lo, v134, s10
	v_add_co_ci_u32_e64 v135, null, 0, v135, vcc_lo
	v_add_co_u32 v136, vcc_lo, v136, s10
	;; [unrolled: 2-line block ×3, first 2 shown]
	v_and_b32_e32 v191, 0xf00, v191
	v_add_nc_u16 v190, 0xf800, v190
	v_pk_fma_f16 v10, v12, v14, v10
	v_and_b32_e32 v12, 0xf00, v16
	v_add_nc_u16 v14, 0xf800, v15
	v_lshrrev_b32_e32 v15, 16, v13
	v_add_co_ci_u32_e64 v139, null, 0, v139, vcc_lo
	v_add_co_u32 v140, vcc_lo, v140, s10
	v_add_co_ci_u32_e64 v141, null, 0, v141, vcc_lo
	v_add_co_u32 v142, vcc_lo, v142, s10
	v_or_b32_sdwa v16, v191, v190 dst_sel:DWORD dst_unused:UNUSED_PAD src0_sel:DWORD src1_sel:BYTE_1
	v_lshlrev_b16 v191, 8, v13
	v_or_b32_sdwa v12, v12, v14 dst_sel:DWORD dst_unused:UNUSED_PAD src0_sel:DWORD src1_sel:BYTE_1
	v_lshlrev_b16 v14, 8, v15
	v_add_co_ci_u32_e64 v143, null, 0, v143, vcc_lo
	v_add_co_u32 v144, vcc_lo, v144, s10
	v_add_co_ci_u32_e64 v145, null, 0, v145, vcc_lo
	v_add_co_u32 v146, vcc_lo, v146, s10
	;; [unrolled: 2-line block ×3, first 2 shown]
	v_add_nc_u16 v16, 0xf800, v16
	v_and_b32_e32 v13, 0xf00, v13
	v_add_nc_u16 v191, 0xf800, v191
	v_and_b32_e32 v15, 0xf00, v15
	v_add_nc_u16 v14, 0xf800, v14
	v_add_co_ci_u32_e64 v149, null, 0, v149, vcc_lo
	v_add_co_u32 v150, vcc_lo, v150, s10
	v_add_co_ci_u32_e64 v151, null, 0, v151, vcc_lo
	v_add_co_u32 v152, vcc_lo, v152, s10
	v_add_nc_u16 v12, 0xf800, v12
	v_lshrrev_b32_e32 v192, 8, v16
	v_or_b32_sdwa v13, v13, v191 dst_sel:DWORD dst_unused:UNUSED_PAD src0_sel:DWORD src1_sel:BYTE_1
	v_or_b32_sdwa v14, v15, v14 dst_sel:DWORD dst_unused:UNUSED_PAD src0_sel:DWORD src1_sel:BYTE_1
	v_add_co_ci_u32_e64 v153, null, 0, v153, vcc_lo
	v_add_co_u32 v154, vcc_lo, v154, s10
	v_add_co_ci_u32_e64 v155, null, 0, v155, vcc_lo
	v_add_co_u32 v156, vcc_lo, v156, s10
	v_add_co_ci_u32_e64 v157, null, 0, v157, vcc_lo
	v_add_co_u32 v158, vcc_lo, v158, s10
	v_cvt_f16_i16_sdwa v16, sext(v16) dst_sel:DWORD dst_unused:UNUSED_PAD src0_sel:BYTE_0
	v_lshrrev_b32_e32 v15, 8, v12
	v_cvt_f16_i16_sdwa v191, sext(v192) dst_sel:DWORD dst_unused:UNUSED_PAD src0_sel:BYTE_0
	v_add_nc_u16 v13, 0xf800, v13
	v_add_nc_u16 v14, 0xf800, v14
	v_add_co_ci_u32_e64 v159, null, 0, v159, vcc_lo
	v_add_co_u32 v160, vcc_lo, v160, s10
	v_add_co_ci_u32_e64 v161, null, 0, v161, vcc_lo
	v_add_co_u32 v162, vcc_lo, v162, s10
	v_cvt_f16_i16_sdwa v12, sext(v12) dst_sel:DWORD dst_unused:UNUSED_PAD src0_sel:BYTE_0
	v_cvt_f16_i16_sdwa v15, sext(v15) dst_sel:DWORD dst_unused:UNUSED_PAD src0_sel:BYTE_0
	v_lshrrev_b32_e32 v193, 8, v13
	v_pack_b32_f16 v16, v16, v191
	v_lshrrev_b32_e32 v191, 8, v14
	v_add_co_ci_u32_e64 v163, null, 0, v163, vcc_lo
	v_add_co_u32 v164, vcc_lo, v164, s10
	v_add_co_ci_u32_e64 v165, null, 0, v165, vcc_lo
	v_add_co_u32 v166, vcc_lo, v166, s10
	v_add_co_ci_u32_e64 v167, null, 0, v167, vcc_lo
	v_add_co_u32 v168, vcc_lo, v168, s10
	s_waitcnt vmcnt(1)
	v_mul_u32_u24_e32 v192, 0x10001, v204
	v_pack_b32_f16 v12, v12, v15
	v_cvt_f16_i16_sdwa v13, sext(v13) dst_sel:DWORD dst_unused:UNUSED_PAD src0_sel:BYTE_0
	v_cvt_f16_i16_sdwa v15, sext(v193) dst_sel:DWORD dst_unused:UNUSED_PAD src0_sel:BYTE_0
	;; [unrolled: 1-line block ×4, first 2 shown]
	v_add_co_ci_u32_e64 v169, null, 0, v169, vcc_lo
	v_add_co_u32 v170, vcc_lo, v170, s10
	v_add_co_ci_u32_e64 v171, null, 0, v171, vcc_lo
	v_add_co_u32 v172, vcc_lo, v172, s10
	v_mul_u32_u24_sdwa v190, v17, v185 dst_sel:DWORD dst_unused:UNUSED_PAD src0_sel:WORD_0 src1_sel:DWORD
	v_pk_mul_f16 v16, v16, v192
	v_pk_mul_f16 v12, v12, v192
	s_waitcnt vmcnt(0)
	v_mul_u32_u24_e32 v189, 0x10001, v189
	v_pack_b32_f16 v13, v13, v15
	v_pack_b32_f16 v14, v14, v191
	v_add_co_ci_u32_e64 v173, null, 0, v173, vcc_lo
	v_add_co_u32 v174, vcc_lo, v174, s10
	v_add_co_ci_u32_e64 v175, null, 0, v175, vcc_lo
	v_add_co_u32 v176, vcc_lo, v176, s10
	v_add_co_ci_u32_e64 v177, null, 0, v177, vcc_lo
	v_add_co_u32 v178, vcc_lo, v178, s10
	v_pk_fma_f16 v11, v16, v190, v11
	v_pk_fma_f16 v10, v12, v190, v10
	v_mul_u32_u24_sdwa v12, v17, v185 dst_sel:DWORD dst_unused:UNUSED_PAD src0_sel:WORD_1 src1_sel:DWORD
	v_pk_mul_f16 v13, v13, v189
	v_pk_mul_f16 v14, v14, v189
	v_add_co_ci_u32_e64 v179, null, 0, v179, vcc_lo
	v_add_co_u32 v180, vcc_lo, v180, s10
	v_add_co_ci_u32_e64 v181, null, 0, v181, vcc_lo
	v_add_co_u32 v182, vcc_lo, v182, s10
	v_pk_fma_f16 v15, v13, v12, v11
	v_pk_fma_f16 v14, v14, v12, v10
	v_add_co_ci_u32_e64 v183, null, 0, v183, vcc_lo
	s_cbranch_scc1 .LBB14_18
; %bb.16:                               ;   in Loop: Header=BB14_11 Depth=1
	v_mov_b32_e32 v10, v186
	s_branch .LBB14_11
.LBB14_17:
	v_mov_b32_e32 v15, 0
	v_mov_b32_e32 v186, 0xfeffffff
	;; [unrolled: 1-line block ×3, first 2 shown]
.LBB14_18:
	v_or_b32_e32 v2, s7, v1
	s_cmp_lg_u64 s[16:17], 0
	s_cselect_b32 s1, -1, 0
	v_cmp_eq_u32_e32 vcc_lo, 0, v2
	s_and_b32 s2, vcc_lo, s1
	s_and_saveexec_b32 s1, s2
	s_cbranch_execz .LBB14_20
; %bb.19:
	s_lshl_b64 s[2:3], s[30:31], 2
	v_max_f32_e32 v2, v186, v186
	s_add_u32 s2, s16, s2
	s_addc_u32 s3, s17, s3
	s_load_dword s2, s[2:3], 0x0
	s_waitcnt lgkmcnt(0)
	v_max_f32_e64 v3, s2, s2
	v_max_f32_e32 v2, v2, v3
	v_sub_f32_e32 v3, v186, v2
	v_sub_f32_e32 v4, s2, v2
	v_mov_b32_e32 v186, v2
	v_mul_f32_e32 v5, 0x3fb8aa3b, v3
	v_mul_f32_e32 v6, 0x3fb8aa3b, v4
	v_cmp_ngt_f32_e32 vcc_lo, 0xc2ce8ed0, v3
	v_fma_f32 v7, 0x3fb8aa3b, v3, -v5
	v_rndne_f32_e32 v8, v5
	v_fma_f32 v9, 0x3fb8aa3b, v4, -v6
	v_rndne_f32_e32 v10, v6
	v_fmac_f32_e32 v7, 0x32a5705f, v3
	v_sub_f32_e32 v5, v5, v8
	v_fmac_f32_e32 v9, 0x32a5705f, v4
	v_sub_f32_e32 v6, v6, v10
	v_add_f32_e32 v5, v5, v7
	v_cvt_i32_f32_e32 v7, v8
	v_add_f32_e32 v6, v6, v9
	v_cvt_i32_f32_e32 v8, v10
	v_exp_f32_e32 v5, v5
	v_exp_f32_e32 v6, v6
	v_ldexp_f32 v5, v5, v7
	v_ldexp_f32 v6, v6, v8
	v_cndmask_b32_e32 v5, 0, v5, vcc_lo
	v_cmp_ngt_f32_e32 vcc_lo, 0xc2ce8ed0, v4
	v_cndmask_b32_e32 v6, 0, v6, vcc_lo
	v_cmp_nlt_f32_e32 vcc_lo, 0x42b17218, v3
	v_cndmask_b32_e32 v3, 0x7f800000, v5, vcc_lo
	v_cmp_nlt_f32_e32 vcc_lo, 0x42b17218, v4
	v_mov_b32_e32 v5, 0x10001
	v_cndmask_b32_e32 v4, 0x7f800000, v6, vcc_lo
	v_cmp_eq_u32_e32 vcc_lo, 0, v0
	v_cvt_f16_f32_e32 v6, v3
	v_cndmask_b32_e32 v4, 0, v4, vcc_lo
	v_mul_u32_u24_sdwa v5, v6, v5 dst_sel:DWORD dst_unused:UNUSED_PAD src0_sel:WORD_0 src1_sel:DWORD
	v_fmac_f32_e32 v4, v41, v3
	v_pk_mul_f16 v15, v15, v5
	v_pk_mul_f16 v14, v14, v5
	v_mov_b32_e32 v41, v4
.LBB14_20:
	s_or_b32 exec_lo, exec_lo, s1
	s_and_saveexec_b32 s1, s0
	s_cbranch_execz .LBB14_22
; %bb.21:
	v_mov_b32_e32 v2, 0xfeffffff
	v_mov_b32_e32 v3, 0
	v_add_nc_u32_e32 v4, 0x400, v40
	ds_write2_b32 v4, v2, v3 offset1:32
.LBB14_22:
	s_or_b32 exec_lo, exec_lo, s1
	v_cmp_eq_u32_e32 vcc_lo, 0, v0
	v_lshlrev_b32_e32 v4, 2, v1
	s_waitcnt lgkmcnt(0)
	s_barrier
	buffer_gl0_inv
	s_and_saveexec_b32 s0, vcc_lo
; %bb.23:
	ds_write_b32 v4, v186 offset:1024
; %bb.24:
	s_or_b32 exec_lo, exec_lo, s0
	s_waitcnt lgkmcnt(0)
	s_barrier
	buffer_gl0_inv
	ds_read_b32 v2, v40 offset:1024
	v_xor_b32_e32 v3, 16, v36
	v_xor_b32_e32 v6, 8, v36
	s_load_dword s1, s[4:5], 0xd4
	v_lshlrev_b32_e32 v0, 3, v0
	v_cmp_gt_i32_e64 s0, 32, v3
	v_lshl_add_u32 v0, v1, 8, v0
	v_cndmask_b32_e64 v3, v36, v3, s0
	v_cmp_gt_i32_e64 s0, 32, v6
	v_lshlrev_b32_e32 v3, 2, v3
	v_cndmask_b32_e64 v6, v36, v6, s0
	s_waitcnt lgkmcnt(0)
	ds_bpermute_b32 v5, v3, v2
	v_max_f32_e32 v2, v2, v2
	s_waitcnt lgkmcnt(0)
	v_max_f32_e32 v7, v5, v5
	v_lshlrev_b32_e32 v5, 2, v6
	v_max_f32_e32 v2, v2, v7
	v_xor_b32_e32 v7, 4, v36
	ds_bpermute_b32 v6, v5, v2
	v_cmp_gt_i32_e64 s0, 32, v7
	v_cndmask_b32_e64 v7, v36, v7, s0
	s_waitcnt lgkmcnt(0)
	v_max_f32_e32 v8, v6, v6
	v_lshlrev_b32_e32 v6, 2, v7
	v_max_f32_e32 v2, v2, v8
	v_xor_b32_e32 v8, 2, v36
	ds_bpermute_b32 v7, v6, v2
	v_cmp_gt_i32_e64 s0, 32, v8
	v_cndmask_b32_e64 v8, v36, v8, s0
	;; [unrolled: 8-line block ×3, first 2 shown]
	s_waitcnt lgkmcnt(0)
	v_max_f32_e32 v10, v8, v8
	v_lshlrev_b32_e32 v8, 2, v9
	v_max_f32_e32 v2, v2, v10
	ds_bpermute_b32 v9, v8, v2
	s_waitcnt lgkmcnt(0)
	v_max_f32_e32 v9, v9, v9
	v_max_f32_e32 v2, v2, v9
	v_sub_f32_e32 v9, v186, v2
	v_mul_f32_e32 v10, 0x3fb8aa3b, v9
	v_cmp_ngt_f32_e64 s0, 0xc2ce8ed0, v9
	v_fma_f32 v11, 0x3fb8aa3b, v9, -v10
	v_rndne_f32_e32 v12, v10
	v_fmamk_f32 v11, v9, 0x32a5705f, v11
	v_sub_f32_e32 v10, v10, v12
	v_add_f32_e32 v10, v10, v11
	v_cvt_i32_f32_e32 v11, v12
	v_mov_b32_e32 v12, 0x10001
	v_exp_f32_e32 v10, v10
	v_ldexp_f32 v10, v10, v11
	v_cndmask_b32_e64 v10, 0, v10, s0
	v_cmp_nlt_f32_e64 s0, 0x42b17218, v9
	v_cndmask_b32_e64 v11, 0x7f800000, v10, s0
	v_mul_f32_e32 v9, v41, v11
	ds_bpermute_b32 v9, v3, v9
	s_waitcnt lgkmcnt(0)
	v_fmac_f32_e32 v9, v41, v11
	v_cvt_f16_f32_e32 v11, v11
	ds_bpermute_b32 v10, v5, v9
	v_mul_u32_u24_sdwa v12, v11, v12 dst_sel:DWORD dst_unused:UNUSED_PAD src0_sel:WORD_0 src1_sel:DWORD
	v_pk_mul_f16 v11, v15, v12
	v_pk_mul_f16 v12, v14, v12
	ds_write_b64 v0, v[11:12]
	s_waitcnt lgkmcnt(1)
	v_add_f32_e32 v9, v9, v10
	ds_bpermute_b32 v10, v6, v9
	s_waitcnt lgkmcnt(0)
	v_add_f32_e32 v9, v9, v10
	ds_bpermute_b32 v10, v7, v9
	;; [unrolled: 3-line block ×3, first 2 shown]
	s_and_saveexec_b32 s0, vcc_lo
	s_cbranch_execz .LBB14_26
; %bb.25:
	s_waitcnt lgkmcnt(0)
	v_add_f32_e32 v0, v9, v10
	ds_write_b32 v4, v0 offset:1152
.LBB14_26:
	s_or_b32 exec_lo, exec_lo, s0
	s_waitcnt lgkmcnt(0)
	s_barrier
	buffer_gl0_inv
	ds_read_b32 v0, v40 offset:1152
	ds_read_u16 v1, v39 offset:768
	s_mul_i32 s0, s33, s28
	s_mov_b32 s3, 0
	s_add_i32 s0, s0, s6
	s_mul_i32 s0, s0, s29
	s_add_i32 s0, s0, s30
	s_mul_i32 s0, s1, s0
	s_add_i32 s2, s0, s7
	s_cmp_eq_u32 s1, 1
	s_waitcnt lgkmcnt(1)
	ds_bpermute_b32 v3, v3, v0
	s_waitcnt lgkmcnt(1)
	v_cvt_f32_f16_e32 v1, v1
	s_waitcnt lgkmcnt(0)
	v_add_f32_e32 v0, v0, v3
	ds_bpermute_b32 v3, v5, v0
	s_waitcnt lgkmcnt(0)
	v_add_f32_e32 v0, v0, v3
	ds_bpermute_b32 v3, v6, v0
	ds_read_u16 v4, v39
	ds_read_u16 v5, v39 offset:256
	ds_read_u16 v6, v39 offset:512
	s_waitcnt lgkmcnt(1)
	v_cvt_f32_f16_e32 v5, v5
	v_add_f32_e32 v0, v0, v3
	s_waitcnt lgkmcnt(0)
	v_cvt_f32_f16_e32 v6, v6
	ds_bpermute_b32 v3, v7, v0
	s_waitcnt lgkmcnt(0)
	v_add_f32_e32 v0, v0, v3
	v_cvt_f32_f16_e32 v3, v4
	ds_bpermute_b32 v4, v8, v0
	v_add_f32_e32 v3, 0, v3
	v_add_f32_e32 v3, v3, v5
	v_add_f32_e32 v3, v3, v6
	v_add_f32_e32 v6, v3, v1
	s_waitcnt lgkmcnt(0)
	v_add_f32_e32 v3, v0, v4
	v_div_scale_f32 v0, null, v3, v3, v6
	v_div_scale_f32 v5, vcc_lo, v6, v3, v6
	v_rcp_f32_e32 v4, v0
	v_fma_f32 v1, -v0, v4, 1.0
	v_fmac_f32_e32 v4, v1, v4
	v_mul_f32_e32 v7, v5, v4
	v_fma_f32 v1, -v0, v7, v5
	v_fmac_f32_e32 v7, v1, v4
	v_mov_b32_e32 v1, 0
	v_fma_f32 v5, -v0, v7, v5
	v_lshl_or_b32 v0, s2, 7, v38
	v_div_fmas_f32 v7, v5, v4, v7
	v_lshlrev_b64 v[4:5], 2, v[0:1]
	v_cmp_eq_u32_e32 vcc_lo, 0, v38
	v_div_fixup_f32 v0, v7, v3, v6
	v_add_co_u32 v4, s0, s20, v4
	v_add_co_ci_u32_e64 v5, null, s21, v5, s0
	s_cselect_b32 s0, -1, 0
	s_cmp_lg_u32 s1, 1
	v_cndmask_b32_e64 v0, v6, v0, s0
	s_cselect_b32 s0, -1, 0
	s_and_b32 s0, vcc_lo, s0
	global_store_dword v[4:5], v0, off
	s_and_saveexec_b32 s1, s0
	s_cbranch_execz .LBB14_28
; %bb.27:
	s_lshl_b64 s[0:1], s[2:3], 3
	s_add_u32 s0, s22, s0
	s_addc_u32 s1, s23, s1
	global_store_dwordx2 v1, v[2:3], s[0:1]
.LBB14_28:
	s_endpgm
	.section	.rodata,"a",@progbits
	.p2align	6, 0x0
	.amdhsa_kernel _ZL18flash_attn_ext_vecILi128ELi1EL9ggml_type2ELS0_2ELb0EEvPKcS2_S2_S2_S2_PKiPfP15HIP_vector_typeIfLj2EEffffjfiS6_IjLj3EEiiiiiiiiiiiliiliiiiil
		.amdhsa_group_segment_fixed_size 1280
		.amdhsa_private_segment_fixed_size 0
		.amdhsa_kernarg_size 464
		.amdhsa_user_sgpr_count 6
		.amdhsa_user_sgpr_private_segment_buffer 1
		.amdhsa_user_sgpr_dispatch_ptr 0
		.amdhsa_user_sgpr_queue_ptr 0
		.amdhsa_user_sgpr_kernarg_segment_ptr 1
		.amdhsa_user_sgpr_dispatch_id 0
		.amdhsa_user_sgpr_flat_scratch_init 0
		.amdhsa_user_sgpr_private_segment_size 0
		.amdhsa_wavefront_size32 1
		.amdhsa_uses_dynamic_stack 0
		.amdhsa_system_sgpr_private_segment_wavefront_offset 0
		.amdhsa_system_sgpr_workgroup_id_x 1
		.amdhsa_system_sgpr_workgroup_id_y 1
		.amdhsa_system_sgpr_workgroup_id_z 1
		.amdhsa_system_sgpr_workgroup_info 0
		.amdhsa_system_vgpr_workitem_id 1
		.amdhsa_next_free_vgpr 252
		.amdhsa_next_free_sgpr 50
		.amdhsa_reserve_vcc 1
		.amdhsa_reserve_flat_scratch 0
		.amdhsa_float_round_mode_32 0
		.amdhsa_float_round_mode_16_64 0
		.amdhsa_float_denorm_mode_32 3
		.amdhsa_float_denorm_mode_16_64 3
		.amdhsa_dx10_clamp 1
		.amdhsa_ieee_mode 1
		.amdhsa_fp16_overflow 0
		.amdhsa_workgroup_processor_mode 1
		.amdhsa_memory_ordered 1
		.amdhsa_forward_progress 1
		.amdhsa_shared_vgpr_count 0
		.amdhsa_exception_fp_ieee_invalid_op 0
		.amdhsa_exception_fp_denorm_src 0
		.amdhsa_exception_fp_ieee_div_zero 0
		.amdhsa_exception_fp_ieee_overflow 0
		.amdhsa_exception_fp_ieee_underflow 0
		.amdhsa_exception_fp_ieee_inexact 0
		.amdhsa_exception_int_div_zero 0
	.end_amdhsa_kernel
	.section	.text._ZL18flash_attn_ext_vecILi128ELi1EL9ggml_type2ELS0_2ELb0EEvPKcS2_S2_S2_S2_PKiPfP15HIP_vector_typeIfLj2EEffffjfiS6_IjLj3EEiiiiiiiiiiiliiliiiiil,"axG",@progbits,_ZL18flash_attn_ext_vecILi128ELi1EL9ggml_type2ELS0_2ELb0EEvPKcS2_S2_S2_S2_PKiPfP15HIP_vector_typeIfLj2EEffffjfiS6_IjLj3EEiiiiiiiiiiiliiliiiiil,comdat
.Lfunc_end14:
	.size	_ZL18flash_attn_ext_vecILi128ELi1EL9ggml_type2ELS0_2ELb0EEvPKcS2_S2_S2_S2_PKiPfP15HIP_vector_typeIfLj2EEffffjfiS6_IjLj3EEiiiiiiiiiiiliiliiiiil, .Lfunc_end14-_ZL18flash_attn_ext_vecILi128ELi1EL9ggml_type2ELS0_2ELb0EEvPKcS2_S2_S2_S2_PKiPfP15HIP_vector_typeIfLj2EEffffjfiS6_IjLj3EEiiiiiiiiiiiliiliiiiil
                                        ; -- End function
	.set _ZL18flash_attn_ext_vecILi128ELi1EL9ggml_type2ELS0_2ELb0EEvPKcS2_S2_S2_S2_PKiPfP15HIP_vector_typeIfLj2EEffffjfiS6_IjLj3EEiiiiiiiiiiiliiliiiiil.num_vgpr, 252
	.set _ZL18flash_attn_ext_vecILi128ELi1EL9ggml_type2ELS0_2ELb0EEvPKcS2_S2_S2_S2_PKiPfP15HIP_vector_typeIfLj2EEffffjfiS6_IjLj3EEiiiiiiiiiiiliiliiiiil.num_agpr, 0
	.set _ZL18flash_attn_ext_vecILi128ELi1EL9ggml_type2ELS0_2ELb0EEvPKcS2_S2_S2_S2_PKiPfP15HIP_vector_typeIfLj2EEffffjfiS6_IjLj3EEiiiiiiiiiiiliiliiiiil.numbered_sgpr, 50
	.set _ZL18flash_attn_ext_vecILi128ELi1EL9ggml_type2ELS0_2ELb0EEvPKcS2_S2_S2_S2_PKiPfP15HIP_vector_typeIfLj2EEffffjfiS6_IjLj3EEiiiiiiiiiiiliiliiiiil.num_named_barrier, 0
	.set _ZL18flash_attn_ext_vecILi128ELi1EL9ggml_type2ELS0_2ELb0EEvPKcS2_S2_S2_S2_PKiPfP15HIP_vector_typeIfLj2EEffffjfiS6_IjLj3EEiiiiiiiiiiiliiliiiiil.private_seg_size, 0
	.set _ZL18flash_attn_ext_vecILi128ELi1EL9ggml_type2ELS0_2ELb0EEvPKcS2_S2_S2_S2_PKiPfP15HIP_vector_typeIfLj2EEffffjfiS6_IjLj3EEiiiiiiiiiiiliiliiiiil.uses_vcc, 1
	.set _ZL18flash_attn_ext_vecILi128ELi1EL9ggml_type2ELS0_2ELb0EEvPKcS2_S2_S2_S2_PKiPfP15HIP_vector_typeIfLj2EEffffjfiS6_IjLj3EEiiiiiiiiiiiliiliiiiil.uses_flat_scratch, 0
	.set _ZL18flash_attn_ext_vecILi128ELi1EL9ggml_type2ELS0_2ELb0EEvPKcS2_S2_S2_S2_PKiPfP15HIP_vector_typeIfLj2EEffffjfiS6_IjLj3EEiiiiiiiiiiiliiliiiiil.has_dyn_sized_stack, 0
	.set _ZL18flash_attn_ext_vecILi128ELi1EL9ggml_type2ELS0_2ELb0EEvPKcS2_S2_S2_S2_PKiPfP15HIP_vector_typeIfLj2EEffffjfiS6_IjLj3EEiiiiiiiiiiiliiliiiiil.has_recursion, 0
	.set _ZL18flash_attn_ext_vecILi128ELi1EL9ggml_type2ELS0_2ELb0EEvPKcS2_S2_S2_S2_PKiPfP15HIP_vector_typeIfLj2EEffffjfiS6_IjLj3EEiiiiiiiiiiiliiliiiiil.has_indirect_call, 0
	.section	.AMDGPU.csdata,"",@progbits
; Kernel info:
; codeLenInByte = 19304
; TotalNumSgprs: 52
; NumVgprs: 252
; ScratchSize: 0
; MemoryBound: 0
; FloatMode: 240
; IeeeMode: 1
; LDSByteSize: 1280 bytes/workgroup (compile time only)
; SGPRBlocks: 0
; VGPRBlocks: 31
; NumSGPRsForWavesPerEU: 52
; NumVGPRsForWavesPerEU: 252
; Occupancy: 4
; WaveLimiterHint : 0
; COMPUTE_PGM_RSRC2:SCRATCH_EN: 0
; COMPUTE_PGM_RSRC2:USER_SGPR: 6
; COMPUTE_PGM_RSRC2:TRAP_HANDLER: 0
; COMPUTE_PGM_RSRC2:TGID_X_EN: 1
; COMPUTE_PGM_RSRC2:TGID_Y_EN: 1
; COMPUTE_PGM_RSRC2:TGID_Z_EN: 1
; COMPUTE_PGM_RSRC2:TIDIG_COMP_CNT: 1
	.section	.text._ZL33flash_attn_stream_k_fixup_uniformILi128ELi1ELi1EEvPfPK15HIP_vector_typeIfLj2EEiiiiiiS1_IjLj3EES5_S5_,"axG",@progbits,_ZL33flash_attn_stream_k_fixup_uniformILi128ELi1ELi1EEvPfPK15HIP_vector_typeIfLj2EEiiiiiiS1_IjLj3EES5_S5_,comdat
	.globl	_ZL33flash_attn_stream_k_fixup_uniformILi128ELi1ELi1EEvPfPK15HIP_vector_typeIfLj2EEiiiiiiS1_IjLj3EES5_S5_ ; -- Begin function _ZL33flash_attn_stream_k_fixup_uniformILi128ELi1ELi1EEvPfPK15HIP_vector_typeIfLj2EEiiiiiiS1_IjLj3EES5_S5_
	.p2align	8
	.type	_ZL33flash_attn_stream_k_fixup_uniformILi128ELi1ELi1EEvPfPK15HIP_vector_typeIfLj2EEiiiiiiS1_IjLj3EES5_S5_,@function
_ZL33flash_attn_stream_k_fixup_uniformILi128ELi1ELi1EEvPfPK15HIP_vector_typeIfLj2EEiiiiiiS1_IjLj3EES5_S5_: ; @_ZL33flash_attn_stream_k_fixup_uniformILi128ELi1ELi1EEvPfPK15HIP_vector_typeIfLj2EEiiiiiiS1_IjLj3EES5_S5_
; %bb.0:
	s_clause 0x1
	s_load_dwordx8 s[12:19], s[4:5], 0x1c
	s_load_dwordx4 s[0:3], s[4:5], 0x3c
	s_waitcnt lgkmcnt(0)
	s_mul_hi_u32 s9, s15, s6
	s_add_i32 s9, s6, s9
	s_lshr_b32 s9, s9, s16
	s_mul_i32 s10, s9, s17
	s_sub_i32 s16, s6, s10
	s_load_dwordx2 s[10:11], s[4:5], 0x10
	s_mul_hi_u32 s15, s16, s18
	s_add_i32 s15, s16, s15
	s_lshr_b32 s15, s15, s19
	s_mul_i32 s0, s15, s0
	s_sub_i32 s0, s16, s0
	s_mul_hi_u32 s1, s0, s1
	s_add_i32 s1, s0, s1
	s_lshr_b32 s17, s1, s2
	s_mul_i32 s1, s17, s3
	s_sub_i32 s16, s0, s1
	s_add_i32 s16, s16, s7
	s_waitcnt lgkmcnt(0)
	s_cmp_lt_i32 s16, s10
	s_cselect_b32 s0, -1, 0
	s_add_i32 s17, s17, s8
	s_cmp_lt_i32 s17, s13
	s_cselect_b32 s1, -1, 0
	s_and_b32 s0, s0, s1
	s_andn2_b32 vcc_lo, exec_lo, s0
	s_cbranch_vccnz .LBB15_6
; %bb.1:
	s_mul_i32 s9, s9, s10
	s_load_dwordx4 s[0:3], s[4:5], 0x0
	s_mul_i32 s15, s15, s13
	s_add_i32 s4, s16, s9
	s_add_i32 s5, s17, s15
	s_mul_i32 s4, s4, s11
	s_add_i32 s5, s5, s4
	s_mul_i32 s4, s14, s6
	v_lshl_or_b32 v1, s5, 7, v0
	s_add_i32 s6, s7, s8
	s_add_i32 s5, s4, s14
	s_add_i32 s7, s6, s5
	v_ashrrev_i32_e32 v2, 31, v1
	v_lshlrev_b64 v[1:2], 2, v[1:2]
	s_waitcnt lgkmcnt(0)
	v_add_co_u32 v1, vcc_lo, s0, v1
	v_add_co_ci_u32_e64 v2, null, s1, v2, vcc_lo
	s_add_i32 s0, s7, -1
	s_ashr_i32 s1, s0, 31
	global_load_dword v5, v[1:2], off
	s_lshl_b64 s[0:1], s[0:1], 3
	s_add_u32 s0, s2, s0
	s_addc_u32 s1, s3, s1
	s_add_i32 s9, s5, -2
	s_load_dword s8, s[0:1], 0x4
	s_cmp_lt_i32 s9, s4
	s_cbranch_scc1 .LBB15_4
; %bb.2:
	s_load_dword s9, s[0:1], 0x0
	v_lshl_or_b32 v0, s7, 7, v0
	s_lshl_b32 s0, s12, 2
	s_waitcnt lgkmcnt(0)
	v_mov_b32_e32 v6, s8
	s_ashr_i32 s1, s0, 31
	s_lshl_b64 s[0:1], s[0:1], 2
	v_add_nc_u32_e32 v3, 0xffffff00, v0
	s_add_u32 s0, s2, s0
	s_addc_u32 s1, s3, s1
	s_add_i32 s5, s5, -1
	s_add_i32 s6, s6, s12
	v_mov_b32_e32 v0, s9
.LBB15_3:                               ; =>This Inner Loop Header: Depth=1
	v_ashrrev_i32_e32 v4, 31, v3
	s_add_i32 s5, s5, -1
	s_add_i32 s8, s5, s6
	s_ashr_i32 s9, s8, 31
	v_lshlrev_b64 v[7:8], 2, v[3:4]
	s_lshl_b64 s[8:9], s[8:9], 3
	v_add_nc_u32_e32 v3, 0xffffff80, v3
	s_add_u32 s8, s2, s8
	s_addc_u32 s9, s3, s9
	s_cmp_le_i32 s5, s4
	v_add_co_u32 v7, vcc_lo, s0, v7
	v_add_co_ci_u32_e64 v8, null, s1, v8, vcc_lo
	s_load_dwordx2 s[8:9], s[8:9], 0x0
	global_load_dword v4, v[7:8], off
	v_max_f32_e32 v7, v0, v0
	s_waitcnt lgkmcnt(0)
	v_max_f32_e64 v8, s8, s8
	v_max_f32_e32 v7, v7, v8
	v_sub_f32_e32 v8, s8, v7
	v_sub_f32_e32 v0, v0, v7
	v_mul_f32_e32 v9, 0x3fb8aa3b, v8
	v_mul_f32_e32 v12, 0x3fb8aa3b, v0
	v_cmp_ngt_f32_e32 vcc_lo, 0xc2ce8ed0, v8
	v_fma_f32 v10, 0x3fb8aa3b, v8, -v9
	v_rndne_f32_e32 v11, v9
	v_fma_f32 v13, 0x3fb8aa3b, v0, -v12
	v_rndne_f32_e32 v14, v12
	v_fmac_f32_e32 v10, 0x32a5705f, v8
	v_sub_f32_e32 v9, v9, v11
	v_fmac_f32_e32 v13, 0x32a5705f, v0
	v_cvt_i32_f32_e32 v11, v11
	v_add_f32_e32 v9, v9, v10
	v_sub_f32_e32 v10, v12, v14
	v_exp_f32_e32 v9, v9
	v_add_f32_e32 v10, v10, v13
	v_exp_f32_e32 v10, v10
	v_ldexp_f32 v9, v9, v11
	v_cvt_i32_f32_e32 v11, v14
	v_cndmask_b32_e32 v9, 0, v9, vcc_lo
	v_cmp_nlt_f32_e32 vcc_lo, 0x42b17218, v8
	v_ldexp_f32 v10, v10, v11
	v_mov_b32_e32 v11, v6
	v_cndmask_b32_e32 v9, 0x7f800000, v9, vcc_lo
	v_cmp_ngt_f32_e32 vcc_lo, 0xc2ce8ed0, v0
	v_cndmask_b32_e32 v10, 0, v10, vcc_lo
	v_cmp_le_f32_e32 vcc_lo, 0xc1a00000, v8
	v_cndmask_b32_e32 v8, 0, v9, vcc_lo
	v_cmp_nlt_f32_e32 vcc_lo, 0x42b17218, v0
	s_waitcnt vmcnt(1)
	v_mov_b32_e32 v9, v5
	v_cndmask_b32_e32 v5, 0x7f800000, v10, vcc_lo
	v_mul_f32_e32 v10, s9, v8
	v_cmp_le_f32_e32 vcc_lo, 0xc1a00000, v0
	v_mov_b32_e32 v0, v7
	v_mov_b32_e32 v6, v10
	v_cndmask_b32_e32 v12, 0, v5, vcc_lo
	v_fmac_f32_e32 v6, v11, v12
	s_waitcnt vmcnt(0)
	v_mul_f32_e32 v5, v4, v8
	v_fmac_f32_e32 v5, v9, v12
	s_cbranch_scc0 .LBB15_3
	s_branch .LBB15_5
.LBB15_4:
	s_waitcnt lgkmcnt(0)
	v_mov_b32_e32 v6, s8
.LBB15_5:
	s_waitcnt vmcnt(0)
	v_div_scale_f32 v0, null, v6, v6, v5
	v_rcp_f32_e32 v3, v0
	v_fma_f32 v4, -v0, v3, 1.0
	v_fmac_f32_e32 v3, v4, v3
	v_div_scale_f32 v4, vcc_lo, v5, v6, v5
	v_mul_f32_e32 v7, v4, v3
	v_fma_f32 v8, -v0, v7, v4
	v_fmac_f32_e32 v7, v8, v3
	v_fma_f32 v0, -v0, v7, v4
	v_div_fmas_f32 v0, v0, v3, v7
	v_div_fixup_f32 v0, v0, v6, v5
	global_store_dword v[1:2], v0, off
.LBB15_6:
	s_endpgm
	.section	.rodata,"a",@progbits
	.p2align	6, 0x0
	.amdhsa_kernel _ZL33flash_attn_stream_k_fixup_uniformILi128ELi1ELi1EEvPfPK15HIP_vector_typeIfLj2EEiiiiiiS1_IjLj3EES5_S5_
		.amdhsa_group_segment_fixed_size 0
		.amdhsa_private_segment_fixed_size 0
		.amdhsa_kernarg_size 76
		.amdhsa_user_sgpr_count 6
		.amdhsa_user_sgpr_private_segment_buffer 1
		.amdhsa_user_sgpr_dispatch_ptr 0
		.amdhsa_user_sgpr_queue_ptr 0
		.amdhsa_user_sgpr_kernarg_segment_ptr 1
		.amdhsa_user_sgpr_dispatch_id 0
		.amdhsa_user_sgpr_flat_scratch_init 0
		.amdhsa_user_sgpr_private_segment_size 0
		.amdhsa_wavefront_size32 1
		.amdhsa_uses_dynamic_stack 0
		.amdhsa_system_sgpr_private_segment_wavefront_offset 0
		.amdhsa_system_sgpr_workgroup_id_x 1
		.amdhsa_system_sgpr_workgroup_id_y 1
		.amdhsa_system_sgpr_workgroup_id_z 1
		.amdhsa_system_sgpr_workgroup_info 0
		.amdhsa_system_vgpr_workitem_id 0
		.amdhsa_next_free_vgpr 15
		.amdhsa_next_free_sgpr 20
		.amdhsa_reserve_vcc 1
		.amdhsa_reserve_flat_scratch 0
		.amdhsa_float_round_mode_32 0
		.amdhsa_float_round_mode_16_64 0
		.amdhsa_float_denorm_mode_32 3
		.amdhsa_float_denorm_mode_16_64 3
		.amdhsa_dx10_clamp 1
		.amdhsa_ieee_mode 1
		.amdhsa_fp16_overflow 0
		.amdhsa_workgroup_processor_mode 1
		.amdhsa_memory_ordered 1
		.amdhsa_forward_progress 1
		.amdhsa_shared_vgpr_count 0
		.amdhsa_exception_fp_ieee_invalid_op 0
		.amdhsa_exception_fp_denorm_src 0
		.amdhsa_exception_fp_ieee_div_zero 0
		.amdhsa_exception_fp_ieee_overflow 0
		.amdhsa_exception_fp_ieee_underflow 0
		.amdhsa_exception_fp_ieee_inexact 0
		.amdhsa_exception_int_div_zero 0
	.end_amdhsa_kernel
	.section	.text._ZL33flash_attn_stream_k_fixup_uniformILi128ELi1ELi1EEvPfPK15HIP_vector_typeIfLj2EEiiiiiiS1_IjLj3EES5_S5_,"axG",@progbits,_ZL33flash_attn_stream_k_fixup_uniformILi128ELi1ELi1EEvPfPK15HIP_vector_typeIfLj2EEiiiiiiS1_IjLj3EES5_S5_,comdat
.Lfunc_end15:
	.size	_ZL33flash_attn_stream_k_fixup_uniformILi128ELi1ELi1EEvPfPK15HIP_vector_typeIfLj2EEiiiiiiS1_IjLj3EES5_S5_, .Lfunc_end15-_ZL33flash_attn_stream_k_fixup_uniformILi128ELi1ELi1EEvPfPK15HIP_vector_typeIfLj2EEiiiiiiS1_IjLj3EES5_S5_
                                        ; -- End function
	.set _ZL33flash_attn_stream_k_fixup_uniformILi128ELi1ELi1EEvPfPK15HIP_vector_typeIfLj2EEiiiiiiS1_IjLj3EES5_S5_.num_vgpr, 15
	.set _ZL33flash_attn_stream_k_fixup_uniformILi128ELi1ELi1EEvPfPK15HIP_vector_typeIfLj2EEiiiiiiS1_IjLj3EES5_S5_.num_agpr, 0
	.set _ZL33flash_attn_stream_k_fixup_uniformILi128ELi1ELi1EEvPfPK15HIP_vector_typeIfLj2EEiiiiiiS1_IjLj3EES5_S5_.numbered_sgpr, 20
	.set _ZL33flash_attn_stream_k_fixup_uniformILi128ELi1ELi1EEvPfPK15HIP_vector_typeIfLj2EEiiiiiiS1_IjLj3EES5_S5_.num_named_barrier, 0
	.set _ZL33flash_attn_stream_k_fixup_uniformILi128ELi1ELi1EEvPfPK15HIP_vector_typeIfLj2EEiiiiiiS1_IjLj3EES5_S5_.private_seg_size, 0
	.set _ZL33flash_attn_stream_k_fixup_uniformILi128ELi1ELi1EEvPfPK15HIP_vector_typeIfLj2EEiiiiiiS1_IjLj3EES5_S5_.uses_vcc, 1
	.set _ZL33flash_attn_stream_k_fixup_uniformILi128ELi1ELi1EEvPfPK15HIP_vector_typeIfLj2EEiiiiiiS1_IjLj3EES5_S5_.uses_flat_scratch, 0
	.set _ZL33flash_attn_stream_k_fixup_uniformILi128ELi1ELi1EEvPfPK15HIP_vector_typeIfLj2EEiiiiiiS1_IjLj3EES5_S5_.has_dyn_sized_stack, 0
	.set _ZL33flash_attn_stream_k_fixup_uniformILi128ELi1ELi1EEvPfPK15HIP_vector_typeIfLj2EEiiiiiiS1_IjLj3EES5_S5_.has_recursion, 0
	.set _ZL33flash_attn_stream_k_fixup_uniformILi128ELi1ELi1EEvPfPK15HIP_vector_typeIfLj2EEiiiiiiS1_IjLj3EES5_S5_.has_indirect_call, 0
	.section	.AMDGPU.csdata,"",@progbits
; Kernel info:
; codeLenInByte = 776
; TotalNumSgprs: 22
; NumVgprs: 15
; ScratchSize: 0
; MemoryBound: 0
; FloatMode: 240
; IeeeMode: 1
; LDSByteSize: 0 bytes/workgroup (compile time only)
; SGPRBlocks: 0
; VGPRBlocks: 1
; NumSGPRsForWavesPerEU: 22
; NumVGPRsForWavesPerEU: 15
; Occupancy: 16
; WaveLimiterHint : 0
; COMPUTE_PGM_RSRC2:SCRATCH_EN: 0
; COMPUTE_PGM_RSRC2:USER_SGPR: 6
; COMPUTE_PGM_RSRC2:TRAP_HANDLER: 0
; COMPUTE_PGM_RSRC2:TGID_X_EN: 1
; COMPUTE_PGM_RSRC2:TGID_Y_EN: 1
; COMPUTE_PGM_RSRC2:TGID_Z_EN: 1
; COMPUTE_PGM_RSRC2:TIDIG_COMP_CNT: 0
	.section	.text._ZL33flash_attn_stream_k_fixup_generalILi128ELi1ELi1EEvPfPK15HIP_vector_typeIfLj2EEiiiiS1_IjLj3EES5_S5_S5_,"axG",@progbits,_ZL33flash_attn_stream_k_fixup_generalILi128ELi1ELi1EEvPfPK15HIP_vector_typeIfLj2EEiiiiS1_IjLj3EES5_S5_S5_,comdat
	.globl	_ZL33flash_attn_stream_k_fixup_generalILi128ELi1ELi1EEvPfPK15HIP_vector_typeIfLj2EEiiiiS1_IjLj3EES5_S5_S5_ ; -- Begin function _ZL33flash_attn_stream_k_fixup_generalILi128ELi1ELi1EEvPfPK15HIP_vector_typeIfLj2EEiiiiS1_IjLj3EES5_S5_S5_
	.p2align	8
	.type	_ZL33flash_attn_stream_k_fixup_generalILi128ELi1ELi1EEvPfPK15HIP_vector_typeIfLj2EEiiiiS1_IjLj3EES5_S5_S5_,@function
_ZL33flash_attn_stream_k_fixup_generalILi128ELi1ELi1EEvPfPK15HIP_vector_typeIfLj2EEiiiiS1_IjLj3EES5_S5_S5_: ; @_ZL33flash_attn_stream_k_fixup_generalILi128ELi1ELi1EEvPfPK15HIP_vector_typeIfLj2EEiiiiS1_IjLj3EES5_S5_S5_
; %bb.0:
	s_clause 0x1
	s_load_dwordx4 s[0:3], s[4:5], 0x10
	s_load_dword s9, s[4:5], 0x50
	s_mov_b32 s16, 0
	s_waitcnt lgkmcnt(0)
	s_mul_hi_i32 s17, s3, s6
	s_mul_i32 s18, s3, s6
	s_cmp_lg_u64 s[16:17], 0
	s_cbranch_scc0 .LBB16_21
; %bb.1:
	s_add_u32 s10, s9, 0
	s_addc_u32 s11, 0, 0
	s_xor_b64 s[10:11], s[10:11], 0
	v_cvt_f32_u32_e32 v1, s10
	v_cvt_f32_u32_e32 v2, s11
	s_sub_u32 s14, 0, s10
	s_subb_u32 s15, 0, s11
	v_fmamk_f32 v1, v2, 0x4f800000, v1
	v_rcp_f32_e32 v1, v1
	v_mul_f32_e32 v1, 0x5f7ffffc, v1
	v_mul_f32_e32 v2, 0x2f800000, v1
	v_trunc_f32_e32 v2, v2
	v_fmamk_f32 v1, v2, 0xcf800000, v1
	v_cvt_u32_f32_e32 v2, v2
	v_cvt_u32_f32_e32 v1, v1
	v_readfirstlane_b32 s12, v2
	v_readfirstlane_b32 s13, v1
	s_mul_i32 s19, s14, s12
	s_mul_hi_u32 s21, s14, s13
	s_mul_i32 s20, s15, s13
	s_add_i32 s19, s21, s19
	s_mul_i32 s22, s14, s13
	s_add_i32 s19, s19, s20
	s_mul_hi_u32 s21, s13, s22
	s_mul_i32 s24, s13, s19
	s_mul_hi_u32 s23, s12, s22
	s_mul_i32 s20, s12, s22
	s_mul_hi_u32 s22, s13, s19
	s_add_u32 s21, s21, s24
	s_addc_u32 s22, 0, s22
	s_mul_hi_u32 s25, s12, s19
	s_add_u32 s20, s21, s20
	s_mul_i32 s19, s12, s19
	s_addc_u32 s20, s22, s23
	s_addc_u32 s21, s25, 0
	s_add_u32 s19, s20, s19
	s_addc_u32 s20, 0, s21
	s_add_u32 s13, s13, s19
	s_cselect_b32 s19, -1, 0
	s_mul_hi_u32 s21, s14, s13
	s_cmp_lg_u32 s19, 0
	s_mul_i32 s19, s14, s13
	s_addc_u32 s12, s12, s20
	s_mul_i32 s15, s15, s13
	s_mul_i32 s14, s14, s12
	s_mul_hi_u32 s20, s13, s19
	s_add_i32 s14, s21, s14
	s_mul_hi_u32 s21, s12, s19
	s_add_i32 s14, s14, s15
	s_mul_i32 s15, s12, s19
	s_mul_i32 s23, s13, s14
	s_mul_hi_u32 s22, s13, s14
	s_add_u32 s20, s20, s23
	s_addc_u32 s22, 0, s22
	s_mul_hi_u32 s19, s12, s14
	s_add_u32 s15, s20, s15
	s_mul_i32 s14, s12, s14
	s_addc_u32 s15, s22, s21
	s_addc_u32 s19, s19, 0
	s_add_u32 s14, s15, s14
	s_addc_u32 s15, 0, s19
	s_add_u32 s19, s13, s14
	s_cselect_b32 s13, -1, 0
	s_cmp_lg_u32 s13, 0
	s_addc_u32 s20, s12, s15
	s_ashr_i32 s12, s17, 31
	s_add_u32 s14, s18, s12
	s_mov_b32 s13, s12
	s_addc_u32 s15, s17, s12
	s_xor_b64 s[14:15], s[14:15], s[12:13]
	s_mul_i32 s21, s14, s20
	s_mul_hi_u32 s22, s14, s19
	s_mul_hi_u32 s17, s14, s20
	;; [unrolled: 1-line block ×3, first 2 shown]
	s_mul_i32 s19, s15, s19
	s_add_u32 s21, s22, s21
	s_addc_u32 s17, 0, s17
	s_mul_hi_u32 s23, s15, s20
	s_add_u32 s19, s21, s19
	s_mul_i32 s20, s15, s20
	s_addc_u32 s17, s17, s24
	s_addc_u32 s19, s23, 0
	s_add_u32 s17, s17, s20
	s_addc_u32 s19, 0, s19
	s_mul_hi_u32 s20, s10, s17
	s_mul_i32 s21, s10, s19
	s_mul_i32 s22, s11, s17
	s_add_i32 s20, s20, s21
	s_mul_i32 s21, s10, s17
	s_add_i32 s20, s20, s22
	s_sub_i32 s22, s15, s20
	s_sub_u32 s14, s14, s21
	s_cselect_b32 s21, -1, 0
	s_cmp_lg_u32 s21, 0
	s_subb_u32 s22, s22, s11
	s_sub_u32 s23, s14, s10
	s_cselect_b32 s24, -1, 0
	s_cmp_lg_u32 s24, 0
	s_subb_u32 s22, s22, 0
	s_cmp_ge_u32 s22, s11
	s_cselect_b32 s24, -1, 0
	s_cmp_ge_u32 s23, s10
	s_cselect_b32 s23, -1, 0
	s_cmp_eq_u32 s22, s11
	s_cselect_b32 s22, s23, s24
	s_add_u32 s23, s17, 1
	s_addc_u32 s24, s19, 0
	s_add_u32 s25, s17, 2
	s_addc_u32 s26, s19, 0
	s_cmp_lg_u32 s22, 0
	s_cselect_b32 s22, s25, s23
	s_cselect_b32 s23, s26, s24
	s_cmp_lg_u32 s21, 0
	s_subb_u32 s15, s15, s20
	s_cmp_ge_u32 s15, s11
	s_cselect_b32 s20, -1, 0
	s_cmp_ge_u32 s14, s10
	s_cselect_b32 s10, -1, 0
	s_cmp_eq_u32 s15, s11
	s_cselect_b32 s10, s10, s20
	s_cmp_lg_u32 s10, 0
	s_cselect_b32 s11, s23, s19
	s_cselect_b32 s10, s22, s17
	s_xor_b64 s[12:13], s[12:13], 0
	s_xor_b64 s[10:11], s[10:11], s[12:13]
	s_sub_u32 s10, s10, s12
	s_load_dwordx4 s[12:15], s[4:5], 0x44
	s_andn2_b32 vcc_lo, exec_lo, s16
	s_cbranch_vccnz .LBB16_3
.LBB16_2:
	v_cvt_f32_u32_e32 v1, s9
	s_sub_i32 s11, 0, s9
	v_rcp_iflag_f32_e32 v1, v1
	v_mul_f32_e32 v1, 0x4f7ffffe, v1
	v_cvt_u32_f32_e32 v1, v1
	v_readfirstlane_b32 s10, v1
	s_mul_i32 s11, s11, s10
	s_mul_hi_u32 s11, s10, s11
	s_add_i32 s10, s10, s11
	s_mul_hi_u32 s10, s18, s10
	s_mul_i32 s11, s10, s9
	s_waitcnt lgkmcnt(0)
	s_add_i32 s15, s10, 1
	s_sub_i32 s11, s18, s11
	s_sub_i32 s16, s11, s9
	s_cmp_ge_u32 s11, s9
	s_cselect_b32 s10, s15, s10
	s_cselect_b32 s11, s16, s11
	s_add_i32 s15, s10, 1
	s_cmp_ge_u32 s11, s9
	s_cselect_b32 s10, s15, s10
.LBB16_3:
	s_add_i32 s11, s6, 1
	s_mov_b32 s16, 0
	s_mul_hi_i32 s17, s3, s11
	s_mul_i32 s11, s3, s11
	s_cmp_lg_u64 s[16:17], 0
	s_cbranch_scc0 .LBB16_22
; %bb.4:
	s_add_u32 s18, s9, 0
	s_addc_u32 s19, 0, 0
	s_xor_b64 s[18:19], s[18:19], 0
	v_cvt_f32_u32_e32 v1, s18
	v_cvt_f32_u32_e32 v2, s19
	s_sub_u32 s21, 0, s18
	s_subb_u32 s22, 0, s19
	v_fmamk_f32 v1, v2, 0x4f800000, v1
	v_rcp_f32_e32 v1, v1
	v_mul_f32_e32 v1, 0x5f7ffffc, v1
	v_mul_f32_e32 v2, 0x2f800000, v1
	v_trunc_f32_e32 v2, v2
	v_fmamk_f32 v1, v2, 0xcf800000, v1
	v_cvt_u32_f32_e32 v2, v2
	v_cvt_u32_f32_e32 v1, v1
	s_waitcnt lgkmcnt(0)
	v_readfirstlane_b32 s15, v2
	v_readfirstlane_b32 s20, v1
	s_mul_i32 s23, s21, s15
	s_mul_hi_u32 s25, s21, s20
	s_mul_i32 s24, s22, s20
	s_add_i32 s23, s25, s23
	s_mul_i32 s26, s21, s20
	s_add_i32 s23, s23, s24
	s_mul_hi_u32 s25, s20, s26
	s_mul_i32 s28, s20, s23
	s_mul_hi_u32 s27, s15, s26
	s_mul_i32 s24, s15, s26
	s_mul_hi_u32 s26, s20, s23
	s_add_u32 s25, s25, s28
	s_addc_u32 s26, 0, s26
	s_mul_hi_u32 s29, s15, s23
	s_add_u32 s24, s25, s24
	s_mul_i32 s23, s15, s23
	s_addc_u32 s24, s26, s27
	s_addc_u32 s25, s29, 0
	s_add_u32 s23, s24, s23
	s_addc_u32 s24, 0, s25
	s_add_u32 s20, s20, s23
	s_cselect_b32 s23, -1, 0
	s_mul_hi_u32 s25, s21, s20
	s_cmp_lg_u32 s23, 0
	s_mul_i32 s23, s21, s20
	s_addc_u32 s15, s15, s24
	s_mul_i32 s22, s22, s20
	s_mul_i32 s21, s21, s15
	s_mul_hi_u32 s24, s20, s23
	s_add_i32 s21, s25, s21
	s_mul_hi_u32 s25, s15, s23
	s_add_i32 s21, s21, s22
	s_mul_i32 s22, s15, s23
	s_mul_i32 s27, s20, s21
	s_mul_hi_u32 s26, s20, s21
	s_add_u32 s24, s24, s27
	s_addc_u32 s26, 0, s26
	s_mul_hi_u32 s23, s15, s21
	s_add_u32 s22, s24, s22
	s_mul_i32 s21, s15, s21
	s_addc_u32 s22, s26, s25
	s_addc_u32 s23, s23, 0
	s_add_u32 s21, s22, s21
	s_addc_u32 s22, 0, s23
	s_add_u32 s24, s20, s21
	s_cselect_b32 s20, -1, 0
	s_cmp_lg_u32 s20, 0
	s_addc_u32 s15, s15, s22
	s_ashr_i32 s20, s17, 31
	s_add_u32 s22, s11, s20
	s_mov_b32 s21, s20
	s_addc_u32 s23, s17, s20
	s_xor_b64 s[22:23], s[22:23], s[20:21]
	s_mul_i32 s25, s22, s15
	s_mul_hi_u32 s26, s22, s24
	s_mul_hi_u32 s17, s22, s15
	;; [unrolled: 1-line block ×3, first 2 shown]
	s_mul_i32 s24, s23, s24
	s_add_u32 s25, s26, s25
	s_addc_u32 s17, 0, s17
	s_mul_hi_u32 s27, s23, s15
	s_add_u32 s24, s25, s24
	s_mul_i32 s15, s23, s15
	s_addc_u32 s17, s17, s28
	s_addc_u32 s24, s27, 0
	s_add_u32 s15, s17, s15
	s_addc_u32 s17, 0, s24
	s_mul_hi_u32 s24, s18, s15
	s_mul_i32 s25, s18, s17
	s_mul_i32 s26, s19, s15
	s_add_i32 s24, s24, s25
	s_mul_i32 s25, s18, s15
	s_add_i32 s24, s24, s26
	s_sub_i32 s26, s23, s24
	s_sub_u32 s22, s22, s25
	s_cselect_b32 s25, -1, 0
	s_cmp_lg_u32 s25, 0
	s_subb_u32 s26, s26, s19
	s_sub_u32 s27, s22, s18
	s_cselect_b32 s28, -1, 0
	s_cmp_lg_u32 s28, 0
	s_subb_u32 s26, s26, 0
	s_cmp_ge_u32 s26, s19
	s_cselect_b32 s28, -1, 0
	s_cmp_ge_u32 s27, s18
	s_cselect_b32 s27, -1, 0
	s_cmp_eq_u32 s26, s19
	s_cselect_b32 s26, s27, s28
	s_add_u32 s27, s15, 1
	s_addc_u32 s28, s17, 0
	s_add_u32 s29, s15, 2
	s_addc_u32 s30, s17, 0
	s_cmp_lg_u32 s26, 0
	s_cselect_b32 s26, s29, s27
	s_cselect_b32 s27, s30, s28
	s_cmp_lg_u32 s25, 0
	s_subb_u32 s23, s23, s24
	s_cmp_ge_u32 s23, s19
	s_cselect_b32 s24, -1, 0
	s_cmp_ge_u32 s22, s18
	s_cselect_b32 s18, -1, 0
	s_cmp_eq_u32 s23, s19
	s_cselect_b32 s18, s18, s24
	s_cmp_lg_u32 s18, 0
	s_cselect_b32 s19, s27, s17
	s_cselect_b32 s18, s26, s15
	s_xor_b64 s[20:21], s[20:21], 0
	s_xor_b64 s[18:19], s[18:19], s[20:21]
	s_sub_u32 s18, s18, s20
	s_andn2_b32 vcc_lo, exec_lo, s16
	s_cbranch_vccnz .LBB16_6
.LBB16_5:
	v_cvt_f32_u32_e32 v1, s9
	s_sub_i32 s16, 0, s9
	v_rcp_iflag_f32_e32 v1, v1
	v_mul_f32_e32 v1, 0x4f7ffffe, v1
	v_cvt_u32_f32_e32 v1, v1
	s_waitcnt lgkmcnt(0)
	v_readfirstlane_b32 s15, v1
	s_mul_i32 s16, s16, s15
	s_mul_hi_u32 s16, s15, s16
	s_add_i32 s15, s15, s16
	s_mul_hi_u32 s15, s11, s15
	s_mul_i32 s16, s15, s9
	s_sub_i32 s11, s11, s16
	s_add_i32 s16, s15, 1
	s_sub_i32 s17, s11, s9
	s_cmp_ge_u32 s11, s9
	s_cselect_b32 s15, s16, s15
	s_cselect_b32 s11, s17, s11
	s_add_i32 s16, s15, 1
	s_cmp_ge_u32 s11, s9
	s_cselect_b32 s18, s16, s15
.LBB16_6:
	s_cmp_eq_u32 s10, s18
	s_waitcnt lgkmcnt(0)
	s_mul_hi_u32 s11, s10, s12
	s_cselect_b32 s15, -1, 0
	s_add_i32 s11, s11, s10
	s_lshr_b32 s11, s11, s13
	s_mul_i32 s16, s11, s14
	s_cmp_eq_u32 s16, s10
	s_mul_hi_u32 s16, s18, s12
	s_cselect_b32 s17, -1, 0
	s_add_i32 s16, s16, s18
	s_lshr_b32 s16, s16, s13
	s_cmp_eq_u32 s11, s16
	s_mul_i32 s16, s16, s14
	s_cselect_b32 s19, -1, 0
	s_cmp_lg_u32 s16, s18
	s_cselect_b32 s16, -1, 0
	s_or_b32 s15, s15, s17
	s_and_b32 s16, s19, s16
	s_or_b32 s15, s15, s16
	s_and_b32 vcc_lo, exec_lo, s15
	s_cbranch_vccnz .LBB16_24
; %bb.7:
	s_load_dwordx8 s[16:23], s[4:5], 0x20
	s_waitcnt lgkmcnt(0)
	s_mul_hi_u32 s15, s10, s16
	s_load_dword s16, s[4:5], 0x40
	s_add_i32 s15, s15, s10
	s_lshr_b32 s15, s15, s17
	s_mul_i32 s17, s15, s18
	s_sub_i32 s17, s10, s17
	s_mul_hi_u32 s18, s17, s19
	s_add_i32 s18, s17, s18
	s_lshr_b32 s20, s18, s20
	s_mul_i32 s18, s20, s21
	s_sub_i32 s17, s17, s18
	s_mul_hi_u32 s18, s17, s22
	s_add_i32 s18, s17, s18
	s_lshr_b32 s22, s18, s23
	s_waitcnt lgkmcnt(0)
	s_mul_i32 s16, s22, s16
	s_sub_i32 s16, s17, s16
	s_mul_hi_u32 s17, s16, s12
	s_add_i32 s16, s16, s17
	s_lshr_b32 s21, s16, s13
	s_add_i32 s21, s21, s7
	s_cmp_lt_i32 s21, s0
	s_cselect_b32 s16, -1, 0
	s_add_i32 s22, s22, s8
	s_cmp_lt_i32 s22, s2
	s_cselect_b32 s17, -1, 0
	s_and_b32 s16, s16, s17
	s_andn2_b32 vcc_lo, exec_lo, s16
	s_cbranch_vccnz .LBB16_24
; %bb.8:
	s_load_dwordx4 s[16:19], s[4:5], 0x0
	s_mov_b32 s4, 0
	s_lshl_b32 s24, s9, 2
	s_mov_b32 s25, s4
	s_add_i32 s8, s7, s8
	s_lshl_b64 s[24:25], s[24:25], 2
	s_mul_i32 s0, s15, s0
	s_mul_i32 s20, s20, s2
	v_cvt_f32_u32_e32 v3, s9
	v_rcp_iflag_f32_e32 v3, v3
	s_waitcnt lgkmcnt(0)
	s_add_u32 s2, s18, s24
	s_addc_u32 s15, s19, s25
	s_add_i32 s0, s21, s0
	s_add_i32 s5, s22, s20
	s_mul_i32 s0, s0, s1
	v_mul_f32_e32 v3, 0x4f7ffffe, v3
	s_add_i32 s5, s5, s0
	s_add_i32 s0, s8, s6
	v_lshl_or_b32 v1, s5, 7, v0
	s_ashr_i32 s1, s0, 31
	v_cvt_u32_f32_e32 v3, v3
	s_lshl_b64 s[0:1], s[0:1], 3
	v_ashrrev_i32_e32 v2, 31, v1
	s_add_u32 s0, s18, s0
	s_addc_u32 s1, s19, s1
	s_load_dwordx2 s[0:1], s[0:1], 0x0
	v_lshlrev_b64 v[1:2], 2, v[1:2]
	v_add_co_u32 v1, vcc_lo, s16, v1
	v_add_co_ci_u32_e64 v2, null, s17, v2, vcc_lo
	s_add_i32 s17, s6, -1
	s_sub_i32 s16, 0, s9
	global_load_dword v4, v[1:2], off
	s_waitcnt lgkmcnt(0)
	v_mov_b32_e32 v5, s1
	v_mov_b32_e32 v6, s0
.LBB16_9:                               ; =>This Inner Loop Header: Depth=1
	s_mul_hi_i32 s5, s17, s3
	s_mul_i32 s6, s17, s3
	s_cmp_lg_u64 s[4:5], 0
	s_mov_b32 s7, -1
                                        ; implicit-def: $sgpr0_sgpr1
	s_cbranch_scc0 .LBB16_11
; %bb.10:                               ;   in Loop: Header=BB16_9 Depth=1
	s_add_u32 s0, s9, 0
	s_addc_u32 s1, 0, 0
	s_xor_b64 s[0:1], s[0:1], 0
	v_cvt_f32_u32_e32 v7, s0
	v_cvt_f32_u32_e32 v8, s1
	s_sub_u32 s21, 0, s0
	s_subb_u32 s22, 0, s1
	v_fmac_f32_e32 v7, 0x4f800000, v8
	v_rcp_f32_e32 v7, v7
	v_mul_f32_e32 v7, 0x5f7ffffc, v7
	v_mul_f32_e32 v8, 0x2f800000, v7
	v_trunc_f32_e32 v8, v8
	v_fmac_f32_e32 v7, 0xcf800000, v8
	v_cvt_u32_f32_e32 v8, v8
	v_cvt_u32_f32_e32 v7, v7
	v_readfirstlane_b32 s7, v8
	v_readfirstlane_b32 s20, v7
	s_mul_i32 s23, s21, s7
	s_mul_hi_u32 s25, s21, s20
	s_mul_i32 s24, s22, s20
	s_add_i32 s23, s25, s23
	s_mul_i32 s26, s21, s20
	s_add_i32 s23, s23, s24
	s_mul_hi_u32 s25, s20, s26
	s_mul_i32 s28, s20, s23
	s_mul_hi_u32 s27, s7, s26
	s_mul_i32 s24, s7, s26
	s_mul_hi_u32 s26, s20, s23
	s_add_u32 s25, s25, s28
	s_addc_u32 s26, 0, s26
	s_mul_hi_u32 s29, s7, s23
	s_add_u32 s24, s25, s24
	s_mul_i32 s23, s7, s23
	s_addc_u32 s24, s26, s27
	s_addc_u32 s25, s29, 0
	s_add_u32 s23, s24, s23
	s_addc_u32 s24, 0, s25
	s_add_u32 s20, s20, s23
	s_cselect_b32 s23, -1, 0
	s_mul_hi_u32 s25, s21, s20
	s_cmp_lg_u32 s23, 0
	s_mul_i32 s23, s21, s20
	s_addc_u32 s7, s7, s24
	s_mul_i32 s22, s22, s20
	s_mul_i32 s21, s21, s7
	s_mul_hi_u32 s24, s20, s23
	s_add_i32 s21, s25, s21
	s_mul_hi_u32 s25, s7, s23
	s_add_i32 s21, s21, s22
	s_mul_i32 s22, s7, s23
	s_mul_i32 s27, s20, s21
	s_mul_hi_u32 s26, s20, s21
	s_add_u32 s24, s24, s27
	s_addc_u32 s26, 0, s26
	s_mul_hi_u32 s23, s7, s21
	s_add_u32 s22, s24, s22
	s_mul_i32 s21, s7, s21
	s_addc_u32 s22, s26, s25
	s_addc_u32 s23, s23, 0
	s_add_u32 s21, s22, s21
	s_addc_u32 s22, 0, s23
	s_add_u32 s24, s20, s21
	s_cselect_b32 s20, -1, 0
	s_cmp_lg_u32 s20, 0
	s_addc_u32 s7, s7, s22
	s_ashr_i32 s20, s5, 31
	s_add_u32 s22, s6, s20
	s_mov_b32 s21, s20
	s_addc_u32 s23, s5, s20
	s_xor_b64 s[22:23], s[22:23], s[20:21]
	s_mul_i32 s25, s22, s7
	s_mul_hi_u32 s26, s22, s24
	s_mul_hi_u32 s5, s22, s7
	;; [unrolled: 1-line block ×3, first 2 shown]
	s_mul_i32 s24, s23, s24
	s_add_u32 s25, s26, s25
	s_addc_u32 s5, 0, s5
	s_mul_hi_u32 s27, s23, s7
	s_add_u32 s24, s25, s24
	s_mul_i32 s7, s23, s7
	s_addc_u32 s5, s5, s28
	s_addc_u32 s24, s27, 0
	s_add_u32 s5, s5, s7
	s_addc_u32 s7, 0, s24
	s_mul_hi_u32 s24, s0, s5
	s_mul_i32 s25, s0, s7
	s_mul_i32 s26, s1, s5
	s_add_i32 s24, s24, s25
	s_mul_i32 s25, s0, s5
	s_add_i32 s24, s24, s26
	s_sub_i32 s26, s23, s24
	s_sub_u32 s22, s22, s25
	s_cselect_b32 s25, -1, 0
	s_cmp_lg_u32 s25, 0
	s_subb_u32 s26, s26, s1
	s_sub_u32 s27, s22, s0
	s_cselect_b32 s28, -1, 0
	s_cmp_lg_u32 s28, 0
	s_subb_u32 s26, s26, 0
	s_cmp_ge_u32 s26, s1
	s_cselect_b32 s28, -1, 0
	s_cmp_ge_u32 s27, s0
	s_cselect_b32 s27, -1, 0
	s_cmp_eq_u32 s26, s1
	s_cselect_b32 s26, s27, s28
	s_add_u32 s27, s5, 1
	s_addc_u32 s28, s7, 0
	s_add_u32 s29, s5, 2
	s_addc_u32 s30, s7, 0
	s_cmp_lg_u32 s26, 0
	s_cselect_b32 s26, s29, s27
	s_cselect_b32 s27, s30, s28
	s_cmp_lg_u32 s25, 0
	s_subb_u32 s23, s23, s24
	s_cmp_ge_u32 s23, s1
	s_cselect_b32 s24, -1, 0
	s_cmp_ge_u32 s22, s0
	s_cselect_b32 s0, -1, 0
	s_cmp_eq_u32 s23, s1
	s_cselect_b32 s0, s0, s24
	s_cmp_lg_u32 s0, 0
	s_cselect_b32 s1, s27, s7
	s_cselect_b32 s0, s26, s5
	s_xor_b64 s[20:21], s[20:21], 0
	s_mov_b32 s7, 0
	s_xor_b64 s[0:1], s[0:1], s[20:21]
	s_sub_u32 s0, s0, s20
.LBB16_11:                              ;   in Loop: Header=BB16_9 Depth=1
	s_andn2_b32 vcc_lo, exec_lo, s7
	s_cbranch_vccnz .LBB16_13
; %bb.12:                               ;   in Loop: Header=BB16_9 Depth=1
	v_readfirstlane_b32 s0, v3
	s_mul_i32 s1, s16, s0
	s_mul_hi_u32 s1, s0, s1
	s_add_i32 s0, s0, s1
	s_mul_hi_u32 s0, s6, s0
	s_mul_i32 s1, s0, s9
	s_add_i32 s5, s0, 1
	s_sub_i32 s1, s6, s1
	s_sub_i32 s6, s1, s9
	s_cmp_ge_u32 s1, s9
	s_cselect_b32 s0, s5, s0
	s_cselect_b32 s1, s6, s1
	s_add_i32 s5, s0, 1
	s_cmp_ge_u32 s1, s9
	s_cselect_b32 s0, s5, s0
.LBB16_13:                              ;   in Loop: Header=BB16_9 Depth=1
	s_cmp_lg_u32 s10, s0
	s_mov_b32 s6, -1
                                        ; implicit-def: $sgpr5
                                        ; implicit-def: $vgpr8
                                        ; implicit-def: $vgpr7
                                        ; implicit-def: $vgpr9
                                        ; implicit-def: $sgpr1
                                        ; implicit-def: $sgpr20
	s_cbranch_scc0 .LBB16_18
; %bb.14:                               ;   in Loop: Header=BB16_9 Depth=1
	s_add_i32 s21, s17, s8
	s_mov_b32 s7, s4
	s_add_i32 s6, s21, s9
	s_mul_hi_u32 s1, s0, s12
	s_lshl_b64 s[6:7], s[6:7], 3
	s_mov_b32 s20, s10
	s_add_u32 s6, s18, s6
	s_addc_u32 s7, s19, s7
	s_add_i32 s1, s1, s0
	s_lshr_b32 s1, s1, s13
	s_mul_i32 s5, s1, s14
	s_cmp_eq_u32 s5, s0
	s_cselect_b32 s5, -1, 0
	s_cmp_lt_u32 s1, s11
	s_cselect_b32 s1, -1, 0
	s_or_b32 s1, s1, s5
	s_mov_b32 s5, -1
	s_and_b32 vcc_lo, exec_lo, s1
	s_mov_b32 s1, s17
	s_cbranch_vccnz .LBB16_16
; %bb.15:                               ;   in Loop: Header=BB16_9 Depth=1
	s_add_i32 s1, s17, -1
	s_mov_b32 s5, 0
	s_mov_b32 s20, s0
.LBB16_16:                              ;   in Loop: Header=BB16_9 Depth=1
	v_lshl_or_b32 v7, s21, 7, v0
	s_load_dwordx2 s[6:7], s[6:7], 0x0
	v_ashrrev_i32_e32 v8, 31, v7
	v_lshlrev_b64 v[7:8], 2, v[7:8]
	v_add_co_u32 v7, vcc_lo, s2, v7
	v_add_co_ci_u32_e64 v8, null, s15, v8, vcc_lo
	s_waitcnt lgkmcnt(0)
	v_max_f32_e64 v9, s6, s6
	global_load_dword v8, v[7:8], off
	v_max_f32_e32 v7, v6, v6
	v_max_f32_e32 v7, v7, v9
	v_sub_f32_e32 v9, s6, v7
	v_sub_f32_e32 v10, v6, v7
	v_mul_f32_e32 v11, 0x3fb8aa3b, v9
	v_mul_f32_e32 v12, 0x3fb8aa3b, v10
	v_cmp_ngt_f32_e32 vcc_lo, 0xc2ce8ed0, v9
	v_fma_f32 v13, 0x3fb8aa3b, v9, -v11
	v_rndne_f32_e32 v14, v11
	v_fma_f32 v15, 0x3fb8aa3b, v10, -v12
	v_rndne_f32_e32 v16, v12
	v_fmac_f32_e32 v13, 0x32a5705f, v9
	v_sub_f32_e32 v11, v11, v14
	v_fmac_f32_e32 v15, 0x32a5705f, v10
	v_sub_f32_e32 v12, v12, v16
	v_add_f32_e32 v11, v11, v13
	v_cvt_i32_f32_e32 v13, v14
	v_add_f32_e32 v12, v12, v15
	v_cvt_i32_f32_e32 v14, v16
	v_exp_f32_e32 v11, v11
	v_exp_f32_e32 v12, v12
	v_ldexp_f32 v11, v11, v13
	v_ldexp_f32 v12, v12, v14
	v_cndmask_b32_e32 v11, 0, v11, vcc_lo
	v_cmp_ngt_f32_e32 vcc_lo, 0xc2ce8ed0, v10
	v_cndmask_b32_e32 v12, 0, v12, vcc_lo
	v_cmp_nlt_f32_e32 vcc_lo, 0x42b17218, v9
	v_cndmask_b32_e32 v11, 0x7f800000, v11, vcc_lo
	v_cmp_nlt_f32_e32 vcc_lo, 0x42b17218, v10
	v_cndmask_b32_e32 v12, 0x7f800000, v12, vcc_lo
	v_cmp_le_f32_e32 vcc_lo, 0xc1a00000, v9
	v_cndmask_b32_e32 v9, 0, v11, vcc_lo
	v_cmp_le_f32_e32 vcc_lo, 0xc1a00000, v10
	v_cndmask_b32_e32 v10, 0, v12, vcc_lo
	s_waitcnt vmcnt(0)
	v_mul_f32_e32 v8, v8, v9
	v_mul_f32_e32 v9, s7, v9
	v_fmac_f32_e32 v8, v4, v10
	v_fmac_f32_e32 v9, v5, v10
	s_cbranch_execz .LBB16_19
.LBB16_17:                              ;   in Loop: Header=BB16_9 Depth=1
	s_andn2_b32 vcc_lo, exec_lo, s5
	s_cbranch_vccnz .LBB16_20
	s_branch .LBB16_23
.LBB16_18:                              ;   in Loop: Header=BB16_9 Depth=1
	s_andn2_b32 vcc_lo, exec_lo, s6
	s_cbranch_vccnz .LBB16_17
.LBB16_19:                              ;   in Loop: Header=BB16_9 Depth=1
	v_mov_b32_e32 v9, v5
	v_mov_b32_e32 v7, v6
	s_waitcnt vmcnt(0)
	v_mov_b32_e32 v8, v4
	s_add_i32 s1, s17, -1
	s_mov_b32 s20, s10
	s_cbranch_execz .LBB16_23
.LBB16_20:                              ;   in Loop: Header=BB16_9 Depth=1
	v_mov_b32_e32 v5, v9
	v_mov_b32_e32 v6, v7
	s_waitcnt vmcnt(0)
	v_mov_b32_e32 v4, v8
	s_mov_b32 s10, s20
	s_mov_b32 s17, s1
	s_branch .LBB16_9
.LBB16_21:
                                        ; implicit-def: $sgpr10_sgpr11
	s_load_dwordx4 s[12:15], s[4:5], 0x44
	s_branch .LBB16_2
.LBB16_22:
                                        ; implicit-def: $sgpr18_sgpr19
	s_branch .LBB16_5
.LBB16_23:
	v_div_scale_f32 v0, null, v9, v9, v8
	v_rcp_f32_e32 v3, v0
	s_waitcnt vmcnt(0)
	v_fma_f32 v4, -v0, v3, 1.0
	v_fmac_f32_e32 v3, v4, v3
	v_div_scale_f32 v4, vcc_lo, v8, v9, v8
	v_mul_f32_e32 v5, v4, v3
	v_fma_f32 v6, -v0, v5, v4
	v_fmac_f32_e32 v5, v6, v3
	v_fma_f32 v0, -v0, v5, v4
	v_div_fmas_f32 v0, v0, v3, v5
	v_div_fixup_f32 v0, v0, v9, v8
	global_store_dword v[1:2], v0, off
.LBB16_24:
	s_endpgm
	.section	.rodata,"a",@progbits
	.p2align	6, 0x0
	.amdhsa_kernel _ZL33flash_attn_stream_k_fixup_generalILi128ELi1ELi1EEvPfPK15HIP_vector_typeIfLj2EEiiiiS1_IjLj3EES5_S5_S5_
		.amdhsa_group_segment_fixed_size 0
		.amdhsa_private_segment_fixed_size 0
		.amdhsa_kernarg_size 336
		.amdhsa_user_sgpr_count 6
		.amdhsa_user_sgpr_private_segment_buffer 1
		.amdhsa_user_sgpr_dispatch_ptr 0
		.amdhsa_user_sgpr_queue_ptr 0
		.amdhsa_user_sgpr_kernarg_segment_ptr 1
		.amdhsa_user_sgpr_dispatch_id 0
		.amdhsa_user_sgpr_flat_scratch_init 0
		.amdhsa_user_sgpr_private_segment_size 0
		.amdhsa_wavefront_size32 1
		.amdhsa_uses_dynamic_stack 0
		.amdhsa_system_sgpr_private_segment_wavefront_offset 0
		.amdhsa_system_sgpr_workgroup_id_x 1
		.amdhsa_system_sgpr_workgroup_id_y 1
		.amdhsa_system_sgpr_workgroup_id_z 1
		.amdhsa_system_sgpr_workgroup_info 0
		.amdhsa_system_vgpr_workitem_id 0
		.amdhsa_next_free_vgpr 17
		.amdhsa_next_free_sgpr 31
		.amdhsa_reserve_vcc 1
		.amdhsa_reserve_flat_scratch 0
		.amdhsa_float_round_mode_32 0
		.amdhsa_float_round_mode_16_64 0
		.amdhsa_float_denorm_mode_32 3
		.amdhsa_float_denorm_mode_16_64 3
		.amdhsa_dx10_clamp 1
		.amdhsa_ieee_mode 1
		.amdhsa_fp16_overflow 0
		.amdhsa_workgroup_processor_mode 1
		.amdhsa_memory_ordered 1
		.amdhsa_forward_progress 1
		.amdhsa_shared_vgpr_count 0
		.amdhsa_exception_fp_ieee_invalid_op 0
		.amdhsa_exception_fp_denorm_src 0
		.amdhsa_exception_fp_ieee_div_zero 0
		.amdhsa_exception_fp_ieee_overflow 0
		.amdhsa_exception_fp_ieee_underflow 0
		.amdhsa_exception_fp_ieee_inexact 0
		.amdhsa_exception_int_div_zero 0
	.end_amdhsa_kernel
	.section	.text._ZL33flash_attn_stream_k_fixup_generalILi128ELi1ELi1EEvPfPK15HIP_vector_typeIfLj2EEiiiiS1_IjLj3EES5_S5_S5_,"axG",@progbits,_ZL33flash_attn_stream_k_fixup_generalILi128ELi1ELi1EEvPfPK15HIP_vector_typeIfLj2EEiiiiS1_IjLj3EES5_S5_S5_,comdat
.Lfunc_end16:
	.size	_ZL33flash_attn_stream_k_fixup_generalILi128ELi1ELi1EEvPfPK15HIP_vector_typeIfLj2EEiiiiS1_IjLj3EES5_S5_S5_, .Lfunc_end16-_ZL33flash_attn_stream_k_fixup_generalILi128ELi1ELi1EEvPfPK15HIP_vector_typeIfLj2EEiiiiS1_IjLj3EES5_S5_S5_
                                        ; -- End function
	.set _ZL33flash_attn_stream_k_fixup_generalILi128ELi1ELi1EEvPfPK15HIP_vector_typeIfLj2EEiiiiS1_IjLj3EES5_S5_S5_.num_vgpr, 17
	.set _ZL33flash_attn_stream_k_fixup_generalILi128ELi1ELi1EEvPfPK15HIP_vector_typeIfLj2EEiiiiS1_IjLj3EES5_S5_S5_.num_agpr, 0
	.set _ZL33flash_attn_stream_k_fixup_generalILi128ELi1ELi1EEvPfPK15HIP_vector_typeIfLj2EEiiiiS1_IjLj3EES5_S5_S5_.numbered_sgpr, 31
	.set _ZL33flash_attn_stream_k_fixup_generalILi128ELi1ELi1EEvPfPK15HIP_vector_typeIfLj2EEiiiiS1_IjLj3EES5_S5_S5_.num_named_barrier, 0
	.set _ZL33flash_attn_stream_k_fixup_generalILi128ELi1ELi1EEvPfPK15HIP_vector_typeIfLj2EEiiiiS1_IjLj3EES5_S5_S5_.private_seg_size, 0
	.set _ZL33flash_attn_stream_k_fixup_generalILi128ELi1ELi1EEvPfPK15HIP_vector_typeIfLj2EEiiiiS1_IjLj3EES5_S5_S5_.uses_vcc, 1
	.set _ZL33flash_attn_stream_k_fixup_generalILi128ELi1ELi1EEvPfPK15HIP_vector_typeIfLj2EEiiiiS1_IjLj3EES5_S5_S5_.uses_flat_scratch, 0
	.set _ZL33flash_attn_stream_k_fixup_generalILi128ELi1ELi1EEvPfPK15HIP_vector_typeIfLj2EEiiiiS1_IjLj3EES5_S5_S5_.has_dyn_sized_stack, 0
	.set _ZL33flash_attn_stream_k_fixup_generalILi128ELi1ELi1EEvPfPK15HIP_vector_typeIfLj2EEiiiiS1_IjLj3EES5_S5_S5_.has_recursion, 0
	.set _ZL33flash_attn_stream_k_fixup_generalILi128ELi1ELi1EEvPfPK15HIP_vector_typeIfLj2EEiiiiS1_IjLj3EES5_S5_S5_.has_indirect_call, 0
	.section	.AMDGPU.csdata,"",@progbits
; Kernel info:
; codeLenInByte = 2900
; TotalNumSgprs: 33
; NumVgprs: 17
; ScratchSize: 0
; MemoryBound: 0
; FloatMode: 240
; IeeeMode: 1
; LDSByteSize: 0 bytes/workgroup (compile time only)
; SGPRBlocks: 0
; VGPRBlocks: 2
; NumSGPRsForWavesPerEU: 33
; NumVGPRsForWavesPerEU: 17
; Occupancy: 16
; WaveLimiterHint : 0
; COMPUTE_PGM_RSRC2:SCRATCH_EN: 0
; COMPUTE_PGM_RSRC2:USER_SGPR: 6
; COMPUTE_PGM_RSRC2:TRAP_HANDLER: 0
; COMPUTE_PGM_RSRC2:TGID_X_EN: 1
; COMPUTE_PGM_RSRC2:TGID_Y_EN: 1
; COMPUTE_PGM_RSRC2:TGID_Z_EN: 1
; COMPUTE_PGM_RSRC2:TIDIG_COMP_CNT: 0
	.section	.text._ZL26flash_attn_combine_resultsILi128EEvPKfPK15HIP_vector_typeIfLj2EEPfi,"axG",@progbits,_ZL26flash_attn_combine_resultsILi128EEvPKfPK15HIP_vector_typeIfLj2EEPfi,comdat
	.globl	_ZL26flash_attn_combine_resultsILi128EEvPKfPK15HIP_vector_typeIfLj2EEPfi ; -- Begin function _ZL26flash_attn_combine_resultsILi128EEvPKfPK15HIP_vector_typeIfLj2EEPfi
	.p2align	8
	.type	_ZL26flash_attn_combine_resultsILi128EEvPKfPK15HIP_vector_typeIfLj2EEPfi,@function
_ZL26flash_attn_combine_resultsILi128EEvPKfPK15HIP_vector_typeIfLj2EEPfi: ; @_ZL26flash_attn_combine_resultsILi128EEvPKfPK15HIP_vector_typeIfLj2EEPfi
; %bb.0:
	s_clause 0x3
	s_load_dwordx2 s[2:3], s[4:5], 0x20
	s_load_dword s9, s[4:5], 0x18
	s_load_dwordx4 s[12:15], s[4:5], 0x0
	s_load_dwordx2 s[10:11], s[4:5], 0x10
	v_lshlrev_b32_e32 v5, 2, v0
	s_mov_b32 s4, exec_lo
	s_waitcnt lgkmcnt(0)
	s_mul_i32 s0, s2, s8
	s_lshl_b32 s1, s9, 1
	s_add_i32 s0, s0, s6
	s_mul_i32 s6, s0, s3
	s_add_i32 s6, s6, s7
	s_mul_i32 s2, s6, s9
	v_cmpx_gt_i32_e64 s1, v0
	s_cbranch_execz .LBB17_3
; %bb.1:
	s_ashr_i32 s3, s2, 31
	v_add_nc_u32_e32 v3, 0, v5
	s_lshl_b64 s[16:17], s[2:3], 3
	v_mov_b32_e32 v4, v0
	s_add_u32 s0, s14, s16
	s_addc_u32 s3, s15, s17
	v_add_co_u32 v1, s0, s0, v5
	v_add_co_ci_u32_e64 v2, null, s3, 0, s0
	s_mov_b32 s3, 0
	.p2align	6
.LBB17_2:                               ; =>This Inner Loop Header: Depth=1
	global_load_dword v6, v[1:2], off
	v_add_nc_u32_e32 v4, 0x80, v4
	v_add_co_u32 v1, vcc_lo, 0x200, v1
	v_add_co_ci_u32_e64 v2, null, 0, v2, vcc_lo
	v_cmp_le_i32_e64 s0, s1, v4
	s_or_b32 s3, s0, s3
	s_waitcnt vmcnt(0)
	ds_write_b32 v3, v6
	v_add_nc_u32_e32 v3, 0x200, v3
	s_andn2_b32 exec_lo, exec_lo, s3
	s_cbranch_execnz .LBB17_2
.LBB17_3:
	s_or_b32 exec_lo, exec_lo, s4
	v_mov_b32_e32 v1, 0
	s_waitcnt lgkmcnt(0)
	s_barrier
	buffer_gl0_inv
	s_cmp_lt_i32 s9, 2
	ds_read_b32 v6, v1
	s_cbranch_scc1 .LBB17_11
; %bb.4:
	s_add_i32 s1, s9, -2
	s_add_i32 s0, s9, -1
	s_cmp_lt_u32 s1, 7
	s_cbranch_scc1 .LBB17_8
; %bb.5:
	s_mov_b32 s3, 0
	s_add_i32 s1, 0, 8
	s_and_b32 s4, s0, -8
	.p2align	6
.LBB17_6:                               ; =>This Inner Loop Header: Depth=1
	v_mov_b32_e32 v9, s1
	s_mov_b32 s5, s3
	s_add_i32 s3, s3, 8
	s_add_i32 s1, s1, 64
	s_cmp_eq_u32 s4, s3
	ds_read2_b32 v[1:2], v9 offset1:2
	ds_read2_b32 v[3:4], v9 offset0:4 offset1:6
	ds_read2_b32 v[7:8], v9 offset0:8 offset1:10
	ds_read2_b32 v[9:10], v9 offset0:12 offset1:14
	s_waitcnt lgkmcnt(3)
	v_max3_f32 v1, v6, v1, v2
	s_waitcnt lgkmcnt(2)
	v_max3_f32 v1, v1, v3, v4
	;; [unrolled: 2-line block ×4, first 2 shown]
	s_cbranch_scc0 .LBB17_6
; %bb.7:
	s_add_i32 s1, s5, 9
	s_and_b32 s0, s0, 7
	s_cmp_eq_u32 s0, 0
	s_cbranch_scc0 .LBB17_9
	s_branch .LBB17_11
.LBB17_8:
	s_mov_b32 s1, 1
	s_and_b32 s0, s0, 7
	s_cmp_eq_u32 s0, 0
	s_cbranch_scc1 .LBB17_11
.LBB17_9:
	s_lshl_b32 s1, s1, 3
	s_add_i32 s1, s1, 0
.LBB17_10:                              ; =>This Inner Loop Header: Depth=1
	v_mov_b32_e32 v1, s1
	s_waitcnt lgkmcnt(0)
	v_max_f32_e32 v2, v6, v6
	s_add_i32 s0, s0, -1
	s_add_i32 s1, s1, 8
	s_cmp_lg_u32 s0, 0
	ds_read_b32 v1, v1
	s_waitcnt lgkmcnt(0)
	v_max_f32_e32 v1, v1, v1
	v_max_f32_e32 v6, v2, v1
	s_cbranch_scc1 .LBB17_10
.LBB17_11:
	s_cmp_lt_i32 s9, 1
	s_cbranch_scc1 .LBB17_16
; %bb.12:
	s_lshl_b32 s0, s2, 7
	s_ashr_i32 s1, s0, 31
	s_lshl_b64 s[0:1], s[0:1], 2
	s_add_u32 s7, s12, s0
	s_addc_u32 s8, s13, s1
	s_cmp_lt_u32 s9, 8
	s_cbranch_scc1 .LBB17_17
; %bb.13:
	v_or_b32_e32 v1, 0x380, v0
	v_mov_b32_e32 v4, 0
	v_mov_b32_e32 v7, 0
	;; [unrolled: 1-line block ×3, first 2 shown]
	s_and_b32 s12, s9, 0x7ffffff8
	s_mov_b32 s13, 0
	s_mov_b32 s14, 0
.LBB17_14:                              ; =>This Inner Loop Header: Depth=1
	v_add_nc_u32_e32 v3, 0xfffffc80, v1
	v_mov_b32_e32 v2, v4
	v_mov_b32_e32 v21, s14
	s_add_i32 s13, s13, 8
	s_add_i32 s14, s14, 64
	v_lshlrev_b64 v[9:10], 2, v[3:4]
	v_add_nc_u32_e32 v3, 0xfffffd00, v1
	v_lshlrev_b64 v[11:12], 2, v[1:2]
	s_cmp_eq_u32 s12, s13
	v_lshlrev_b64 v[13:14], 2, v[3:4]
	v_add_nc_u32_e32 v3, 0xfffffd80, v1
	v_add_co_u32 v9, vcc_lo, s7, v9
	v_add_co_ci_u32_e64 v10, null, s8, v10, vcc_lo
	v_add_co_u32 v13, vcc_lo, s7, v13
	v_lshlrev_b64 v[15:16], 2, v[3:4]
	v_add_nc_u32_e32 v3, 0xfffffe00, v1
	v_add_co_ci_u32_e64 v14, null, s8, v14, vcc_lo
	s_clause 0x1
	global_load_dword v25, v[9:10], off
	global_load_dword v26, v[13:14], off
	v_lshlrev_b64 v[9:10], 2, v[3:4]
	v_add_nc_u32_e32 v3, 0xfffffe80, v1
	v_add_co_u32 v13, vcc_lo, s7, v15
	v_add_co_ci_u32_e64 v14, null, s8, v16, vcc_lo
	v_add_co_u32 v9, vcc_lo, s7, v9
	v_lshlrev_b64 v[15:16], 2, v[3:4]
	v_add_nc_u32_e32 v3, 0xffffff00, v1
	v_add_co_ci_u32_e64 v10, null, s8, v10, vcc_lo
	s_clause 0x1
	global_load_dword v27, v[13:14], off
	global_load_dword v28, v[9:10], off
	v_lshlrev_b64 v[13:14], 2, v[3:4]
	v_add_nc_u32_e32 v3, 0xffffff80, v1
	v_add_co_u32 v9, vcc_lo, s7, v15
	v_add_co_ci_u32_e64 v10, null, s8, v16, vcc_lo
	v_add_co_u32 v13, vcc_lo, s7, v13
	v_lshlrev_b64 v[2:3], 2, v[3:4]
	v_add_co_ci_u32_e64 v14, null, s8, v14, vcc_lo
	s_clause 0x1
	global_load_dword v29, v[9:10], off
	global_load_dword v30, v[13:14], off
	v_add_co_u32 v2, vcc_lo, s7, v2
	v_add_co_ci_u32_e64 v3, null, s8, v3, vcc_lo
	v_add_co_u32 v9, vcc_lo, s7, v11
	v_add_co_ci_u32_e64 v10, null, s8, v12, vcc_lo
	s_clause 0x1
	global_load_dword v2, v[2:3], off
	global_load_dword v3, v[9:10], off
	ds_read2_b64 v[9:12], v21 offset1:1
	ds_read2_b64 v[13:16], v21 offset0:2 offset1:3
	ds_read2_b64 v[17:20], v21 offset0:4 offset1:5
	ds_read2_b64 v[21:24], v21 offset0:6 offset1:7
	v_add_nc_u32_e32 v1, 0x400, v1
	s_waitcnt lgkmcnt(3)
	v_sub_f32_e32 v9, v9, v6
	v_sub_f32_e32 v11, v11, v6
	s_waitcnt lgkmcnt(2)
	v_sub_f32_e32 v13, v13, v6
	v_sub_f32_e32 v15, v15, v6
	s_waitcnt lgkmcnt(1)
	v_sub_f32_e32 v17, v17, v6
	v_mul_f32_e32 v31, 0x3fb8aa3b, v9
	v_mul_f32_e32 v32, 0x3fb8aa3b, v11
	;; [unrolled: 1-line block ×4, first 2 shown]
	v_sub_f32_e32 v19, v19, v6
	v_fma_f32 v39, 0x3fb8aa3b, v9, -v31
	v_rndne_f32_e32 v40, v31
	v_fma_f32 v41, 0x3fb8aa3b, v11, -v32
	v_rndne_f32_e32 v42, v32
	v_fma_f32 v43, 0x3fb8aa3b, v13, -v33
	v_fmac_f32_e32 v39, 0x32a5705f, v9
	v_sub_f32_e32 v31, v31, v40
	v_rndne_f32_e32 v44, v33
	v_fmac_f32_e32 v41, 0x32a5705f, v11
	v_sub_f32_e32 v32, v32, v42
	v_fmac_f32_e32 v43, 0x32a5705f, v13
	v_add_f32_e32 v31, v31, v39
	v_sub_f32_e32 v33, v33, v44
	v_mul_f32_e32 v35, 0x3fb8aa3b, v17
	v_add_f32_e32 v32, v32, v41
	v_fma_f32 v45, 0x3fb8aa3b, v15, -v34
	v_exp_f32_e32 v31, v31
	v_rndne_f32_e32 v46, v34
	v_add_f32_e32 v33, v33, v43
	v_cvt_i32_f32_e32 v40, v40
	v_exp_f32_e32 v32, v32
	s_waitcnt lgkmcnt(0)
	v_sub_f32_e32 v21, v21, v6
	v_mul_f32_e32 v36, 0x3fb8aa3b, v19
	v_fma_f32 v47, 0x3fb8aa3b, v17, -v35
	v_rndne_f32_e32 v48, v35
	v_cvt_i32_f32_e32 v42, v42
	v_fmac_f32_e32 v45, 0x32a5705f, v15
	v_sub_f32_e32 v34, v34, v46
	v_exp_f32_e32 v33, v33
	v_ldexp_f32 v31, v31, v40
	v_cmp_ngt_f32_e64 s5, 0xc2ce8ed0, v9
	v_sub_f32_e32 v23, v23, v6
	v_mul_f32_e32 v37, 0x3fb8aa3b, v21
	v_fma_f32 v49, 0x3fb8aa3b, v19, -v36
	v_rndne_f32_e32 v50, v36
	v_cvt_i32_f32_e32 v44, v44
	v_fmac_f32_e32 v47, 0x32a5705f, v17
	v_sub_f32_e32 v35, v35, v48
	v_add_f32_e32 v34, v34, v45
	v_ldexp_f32 v32, v32, v42
	v_cndmask_b32_e64 v31, 0, v31, s5
	v_cmp_ngt_f32_e64 s5, 0xc2ce8ed0, v11
	v_mul_f32_e32 v38, 0x3fb8aa3b, v23
	v_fma_f32 v51, 0x3fb8aa3b, v21, -v37
	v_rndne_f32_e32 v39, v37
	v_fmac_f32_e32 v49, 0x32a5705f, v19
	v_sub_f32_e32 v36, v36, v50
	v_add_f32_e32 v35, v35, v47
	v_exp_f32_e32 v34, v34
	v_ldexp_f32 v33, v33, v44
	v_cmp_ngt_f32_e32 vcc_lo, 0xc2ce8ed0, v13
	v_cndmask_b32_e64 v32, 0, v32, s5
	v_cmp_nlt_f32_e64 s5, 0x42b17218, v9
	v_fma_f32 v41, 0x3fb8aa3b, v23, -v38
	v_rndne_f32_e32 v43, v38
	v_cvt_i32_f32_e32 v46, v46
	v_fmac_f32_e32 v51, 0x32a5705f, v21
	v_sub_f32_e32 v37, v37, v39
	v_add_f32_e32 v36, v36, v49
	v_exp_f32_e32 v35, v35
	v_cndmask_b32_e64 v9, 0x7f800000, v31, s5
	v_cndmask_b32_e32 v31, 0, v33, vcc_lo
	v_cmp_nlt_f32_e32 vcc_lo, 0x42b17218, v11
	v_cvt_i32_f32_e32 v48, v48
	v_fmac_f32_e32 v41, 0x32a5705f, v23
	v_sub_f32_e32 v38, v38, v43
	v_add_f32_e32 v37, v37, v51
	v_exp_f32_e32 v36, v36
	v_ldexp_f32 v34, v34, v46
	v_cmp_ngt_f32_e64 s0, 0xc2ce8ed0, v15
	v_cndmask_b32_e32 v11, 0x7f800000, v32, vcc_lo
	v_fmac_f32_e32 v8, v9, v10
	v_cmp_nlt_f32_e32 vcc_lo, 0x42b17218, v13
	v_cvt_i32_f32_e32 v50, v50
	v_add_f32_e32 v38, v38, v41
	v_exp_f32_e32 v37, v37
	v_ldexp_f32 v35, v35, v48
	v_cmp_ngt_f32_e64 s1, 0xc2ce8ed0, v17
	v_cndmask_b32_e32 v10, 0x7f800000, v31, vcc_lo
	v_fmac_f32_e32 v8, v11, v12
	v_cmp_nlt_f32_e32 vcc_lo, 0x42b17218, v15
	v_cvt_i32_f32_e32 v39, v39
	v_exp_f32_e32 v38, v38
	v_ldexp_f32 v36, v36, v50
	v_cmp_ngt_f32_e64 s2, 0xc2ce8ed0, v19
	v_fmac_f32_e32 v8, v10, v14
	v_cvt_i32_f32_e32 v43, v43
	v_ldexp_f32 v37, v37, v39
	v_cmp_ngt_f32_e64 s3, 0xc2ce8ed0, v21
	v_cmp_ngt_f32_e64 s4, 0xc2ce8ed0, v23
	v_ldexp_f32 v38, v38, v43
	s_waitcnt vmcnt(7)
	v_fmac_f32_e32 v7, v25, v9
	v_cndmask_b32_e64 v9, 0, v34, s0
	s_waitcnt vmcnt(6)
	v_fmac_f32_e32 v7, v26, v11
	v_cndmask_b32_e64 v11, 0, v35, s1
	v_cndmask_b32_e32 v9, 0x7f800000, v9, vcc_lo
	v_cmp_nlt_f32_e32 vcc_lo, 0x42b17218, v17
	v_fmac_f32_e32 v8, v9, v16
	v_cndmask_b32_e32 v11, 0x7f800000, v11, vcc_lo
	v_cmp_nlt_f32_e32 vcc_lo, 0x42b17218, v19
	s_waitcnt vmcnt(5)
	v_fmac_f32_e32 v7, v27, v10
	v_cndmask_b32_e64 v10, 0, v36, s2
	v_fmac_f32_e32 v8, v11, v18
	s_waitcnt vmcnt(4)
	v_fmac_f32_e32 v7, v28, v9
	v_cndmask_b32_e64 v9, 0, v37, s3
	v_cndmask_b32_e32 v10, 0x7f800000, v10, vcc_lo
	v_cmp_nlt_f32_e32 vcc_lo, 0x42b17218, v21
	v_fmac_f32_e32 v8, v10, v20
	v_cndmask_b32_e32 v9, 0x7f800000, v9, vcc_lo
	v_cmp_nlt_f32_e32 vcc_lo, 0x42b17218, v23
	s_waitcnt vmcnt(3)
	v_fmac_f32_e32 v7, v29, v11
	v_cndmask_b32_e64 v11, 0, v38, s4
	v_fmac_f32_e32 v8, v9, v22
	s_waitcnt vmcnt(2)
	v_fmac_f32_e32 v7, v30, v10
	v_cndmask_b32_e32 v10, 0x7f800000, v11, vcc_lo
	s_waitcnt vmcnt(1)
	v_fmac_f32_e32 v7, v2, v9
	v_fmac_f32_e32 v8, v10, v24
	s_waitcnt vmcnt(0)
	v_fmac_f32_e32 v7, v3, v10
	s_cbranch_scc0 .LBB17_14
; %bb.15:
	s_and_b32 s0, s9, 7
	s_cmp_eq_u32 s0, 0
	s_cbranch_scc0 .LBB17_18
	s_branch .LBB17_20
.LBB17_16:
	v_mov_b32_e32 v0, 0x7fc00000
	s_branch .LBB17_21
.LBB17_17:
	v_mov_b32_e32 v7, 0
	v_mov_b32_e32 v8, 0
	s_mov_b32 s12, 0
	s_and_b32 s0, s9, 7
	s_cmp_eq_u32 s0, 0
	s_cbranch_scc1 .LBB17_20
.LBB17_18:
	v_lshl_or_b32 v0, s12, 7, v0
	v_mov_b32_e32 v1, 0
	s_lshl_b32 s1, s12, 3
	s_add_i32 s1, s1, 0
	s_inst_prefetch 0x1
	.p2align	6
.LBB17_19:                              ; =>This Inner Loop Header: Depth=1
	v_lshlrev_b64 v[2:3], 2, v[0:1]
	v_add_nc_u32_e32 v0, 0x80, v0
	s_add_i32 s0, s0, -1
	v_add_co_u32 v2, vcc_lo, s7, v2
	v_add_co_ci_u32_e64 v3, null, s8, v3, vcc_lo
	global_load_dword v4, v[2:3], off
	v_mov_b32_e32 v2, s1
	s_add_i32 s1, s1, 8
	s_cmp_lg_u32 s0, 0
	ds_read_b64 v[2:3], v2
	s_waitcnt lgkmcnt(0)
	v_sub_f32_e32 v2, v2, v6
	v_mul_f32_e32 v9, 0x3fb8aa3b, v2
	v_cmp_ngt_f32_e32 vcc_lo, 0xc2ce8ed0, v2
	v_fma_f32 v10, 0x3fb8aa3b, v2, -v9
	v_rndne_f32_e32 v11, v9
	v_fmac_f32_e32 v10, 0x32a5705f, v2
	v_sub_f32_e32 v9, v9, v11
	v_add_f32_e32 v9, v9, v10
	v_cvt_i32_f32_e32 v10, v11
	v_exp_f32_e32 v9, v9
	v_ldexp_f32 v9, v9, v10
	v_cndmask_b32_e32 v9, 0, v9, vcc_lo
	v_cmp_nlt_f32_e32 vcc_lo, 0x42b17218, v2
	v_cndmask_b32_e32 v2, 0x7f800000, v9, vcc_lo
	v_fmac_f32_e32 v8, v2, v3
	s_waitcnt vmcnt(0)
	v_fmac_f32_e32 v7, v4, v2
	s_cbranch_scc1 .LBB17_19
.LBB17_20:
	s_inst_prefetch 0x2
	v_div_scale_f32 v0, null, v8, v8, v7
	v_rcp_f32_e32 v1, v0
	v_fma_f32 v2, -v0, v1, 1.0
	v_fmac_f32_e32 v1, v2, v1
	v_div_scale_f32 v2, vcc_lo, v7, v8, v7
	v_mul_f32_e32 v3, v2, v1
	v_fma_f32 v4, -v0, v3, v2
	v_fmac_f32_e32 v3, v4, v1
	v_fma_f32 v0, -v0, v3, v2
	v_div_fmas_f32 v0, v0, v1, v3
	v_div_fixup_f32 v0, v0, v8, v7
.LBB17_21:
	s_lshl_b32 s0, s6, 7
	s_ashr_i32 s1, s0, 31
	s_lshl_b64 s[0:1], s[0:1], 2
	s_add_u32 s0, s10, s0
	s_addc_u32 s1, s11, s1
	global_store_dword v5, v0, s[0:1]
	s_endpgm
	.section	.rodata,"a",@progbits
	.p2align	6, 0x0
	.amdhsa_kernel _ZL26flash_attn_combine_resultsILi128EEvPKfPK15HIP_vector_typeIfLj2EEPfi
		.amdhsa_group_segment_fixed_size 0
		.amdhsa_private_segment_fixed_size 0
		.amdhsa_kernarg_size 288
		.amdhsa_user_sgpr_count 6
		.amdhsa_user_sgpr_private_segment_buffer 1
		.amdhsa_user_sgpr_dispatch_ptr 0
		.amdhsa_user_sgpr_queue_ptr 0
		.amdhsa_user_sgpr_kernarg_segment_ptr 1
		.amdhsa_user_sgpr_dispatch_id 0
		.amdhsa_user_sgpr_flat_scratch_init 0
		.amdhsa_user_sgpr_private_segment_size 0
		.amdhsa_wavefront_size32 1
		.amdhsa_uses_dynamic_stack 0
		.amdhsa_system_sgpr_private_segment_wavefront_offset 0
		.amdhsa_system_sgpr_workgroup_id_x 1
		.amdhsa_system_sgpr_workgroup_id_y 1
		.amdhsa_system_sgpr_workgroup_id_z 1
		.amdhsa_system_sgpr_workgroup_info 0
		.amdhsa_system_vgpr_workitem_id 0
		.amdhsa_next_free_vgpr 52
		.amdhsa_next_free_sgpr 18
		.amdhsa_reserve_vcc 1
		.amdhsa_reserve_flat_scratch 0
		.amdhsa_float_round_mode_32 0
		.amdhsa_float_round_mode_16_64 0
		.amdhsa_float_denorm_mode_32 3
		.amdhsa_float_denorm_mode_16_64 3
		.amdhsa_dx10_clamp 1
		.amdhsa_ieee_mode 1
		.amdhsa_fp16_overflow 0
		.amdhsa_workgroup_processor_mode 1
		.amdhsa_memory_ordered 1
		.amdhsa_forward_progress 1
		.amdhsa_shared_vgpr_count 0
		.amdhsa_exception_fp_ieee_invalid_op 0
		.amdhsa_exception_fp_denorm_src 0
		.amdhsa_exception_fp_ieee_div_zero 0
		.amdhsa_exception_fp_ieee_overflow 0
		.amdhsa_exception_fp_ieee_underflow 0
		.amdhsa_exception_fp_ieee_inexact 0
		.amdhsa_exception_int_div_zero 0
	.end_amdhsa_kernel
	.section	.text._ZL26flash_attn_combine_resultsILi128EEvPKfPK15HIP_vector_typeIfLj2EEPfi,"axG",@progbits,_ZL26flash_attn_combine_resultsILi128EEvPKfPK15HIP_vector_typeIfLj2EEPfi,comdat
.Lfunc_end17:
	.size	_ZL26flash_attn_combine_resultsILi128EEvPKfPK15HIP_vector_typeIfLj2EEPfi, .Lfunc_end17-_ZL26flash_attn_combine_resultsILi128EEvPKfPK15HIP_vector_typeIfLj2EEPfi
                                        ; -- End function
	.set _ZL26flash_attn_combine_resultsILi128EEvPKfPK15HIP_vector_typeIfLj2EEPfi.num_vgpr, 52
	.set _ZL26flash_attn_combine_resultsILi128EEvPKfPK15HIP_vector_typeIfLj2EEPfi.num_agpr, 0
	.set _ZL26flash_attn_combine_resultsILi128EEvPKfPK15HIP_vector_typeIfLj2EEPfi.numbered_sgpr, 18
	.set _ZL26flash_attn_combine_resultsILi128EEvPKfPK15HIP_vector_typeIfLj2EEPfi.num_named_barrier, 0
	.set _ZL26flash_attn_combine_resultsILi128EEvPKfPK15HIP_vector_typeIfLj2EEPfi.private_seg_size, 0
	.set _ZL26flash_attn_combine_resultsILi128EEvPKfPK15HIP_vector_typeIfLj2EEPfi.uses_vcc, 1
	.set _ZL26flash_attn_combine_resultsILi128EEvPKfPK15HIP_vector_typeIfLj2EEPfi.uses_flat_scratch, 0
	.set _ZL26flash_attn_combine_resultsILi128EEvPKfPK15HIP_vector_typeIfLj2EEPfi.has_dyn_sized_stack, 0
	.set _ZL26flash_attn_combine_resultsILi128EEvPKfPK15HIP_vector_typeIfLj2EEPfi.has_recursion, 0
	.set _ZL26flash_attn_combine_resultsILi128EEvPKfPK15HIP_vector_typeIfLj2EEPfi.has_indirect_call, 0
	.section	.AMDGPU.csdata,"",@progbits
; Kernel info:
; codeLenInByte = 2264
; TotalNumSgprs: 20
; NumVgprs: 52
; ScratchSize: 0
; MemoryBound: 0
; FloatMode: 240
; IeeeMode: 1
; LDSByteSize: 0 bytes/workgroup (compile time only)
; SGPRBlocks: 0
; VGPRBlocks: 6
; NumSGPRsForWavesPerEU: 20
; NumVGPRsForWavesPerEU: 52
; Occupancy: 16
; WaveLimiterHint : 0
; COMPUTE_PGM_RSRC2:SCRATCH_EN: 0
; COMPUTE_PGM_RSRC2:USER_SGPR: 6
; COMPUTE_PGM_RSRC2:TRAP_HANDLER: 0
; COMPUTE_PGM_RSRC2:TGID_X_EN: 1
; COMPUTE_PGM_RSRC2:TGID_Y_EN: 1
; COMPUTE_PGM_RSRC2:TGID_Z_EN: 1
; COMPUTE_PGM_RSRC2:TIDIG_COMP_CNT: 0
	.section	.text._ZL18flash_attn_ext_vecILi128ELi1EL9ggml_type2ELS0_2ELb1EEvPKcS2_S2_S2_S2_PKiPfP15HIP_vector_typeIfLj2EEffffjfiS6_IjLj3EEiiiiiiiiiiiliiliiiiil,"axG",@progbits,_ZL18flash_attn_ext_vecILi128ELi1EL9ggml_type2ELS0_2ELb1EEvPKcS2_S2_S2_S2_PKiPfP15HIP_vector_typeIfLj2EEffffjfiS6_IjLj3EEiiiiiiiiiiiliiliiiiil,comdat
	.globl	_ZL18flash_attn_ext_vecILi128ELi1EL9ggml_type2ELS0_2ELb1EEvPKcS2_S2_S2_S2_PKiPfP15HIP_vector_typeIfLj2EEffffjfiS6_IjLj3EEiiiiiiiiiiiliiliiiiil ; -- Begin function _ZL18flash_attn_ext_vecILi128ELi1EL9ggml_type2ELS0_2ELb1EEvPKcS2_S2_S2_S2_PKiPfP15HIP_vector_typeIfLj2EEffffjfiS6_IjLj3EEiiiiiiiiiiiliiliiiiil
	.p2align	8
	.type	_ZL18flash_attn_ext_vecILi128ELi1EL9ggml_type2ELS0_2ELb1EEvPKcS2_S2_S2_S2_PKiPfP15HIP_vector_typeIfLj2EEffffjfiS6_IjLj3EEiiiiiiiiiiiliiliiiiil,@function
_ZL18flash_attn_ext_vecILi128ELi1EL9ggml_type2ELS0_2ELb1EEvPKcS2_S2_S2_S2_PKiPfP15HIP_vector_typeIfLj2EEffffjfiS6_IjLj3EEiiiiiiiiiiiliiliiiiil: ; @_ZL18flash_attn_ext_vecILi128ELi1EL9ggml_type2ELS0_2ELb1EEvPKcS2_S2_S2_S2_PKiPfP15HIP_vector_typeIfLj2EEffffjfiS6_IjLj3EEiiiiiiiiiiiliiliiiiil
; %bb.0:
	s_clause 0x4
	s_load_dwordx2 s[28:29], s[4:5], 0x64
	s_load_dwordx2 s[34:35], s[4:5], 0x80
	;; [unrolled: 1-line block ×3, first 2 shown]
	s_load_dwordx4 s[24:27], s[4:5], 0x40
	s_load_dwordx2 s[36:37], s[4:5], 0x50
	v_mov_b32_e32 v37, 1.0
	s_waitcnt lgkmcnt(0)
	v_cvt_f32_u32_e32 v2, s29
	s_sub_i32 s1, 0, s29
	v_rcp_iflag_f32_e32 v2, v2
	v_mul_f32_e32 v2, 0x4f7ffffe, v2
	v_cvt_u32_f32_e32 v2, v2
	v_readfirstlane_b32 s0, v2
	s_mul_i32 s1, s1, s0
	s_mul_hi_u32 s1, s0, s1
	s_add_i32 s0, s0, s1
	s_mul_hi_u32 s0, s8, s0
	s_mul_i32 s1, s0, s29
	s_add_i32 s2, s0, 1
	s_sub_i32 s1, s8, s1
	s_sub_i32 s3, s1, s29
	s_cmp_ge_u32 s1, s29
	s_cselect_b32 s0, s2, s0
	s_cselect_b32 s1, s3, s1
	s_add_i32 s2, s0, 1
	s_cmp_ge_u32 s1, s29
	s_cselect_b32 s33, s2, s0
	s_abs_i32 s0, s35
	s_abs_i32 s9, s29
	v_cvt_f32_u32_e32 v2, s0
	s_sub_i32 s2, 0, s0
	s_xor_b32 s3, s29, s35
	s_ashr_i32 s3, s3, 31
	v_rcp_iflag_f32_e32 v2, v2
	v_mul_f32_e32 v2, 0x4f7ffffe, v2
	v_cvt_u32_f32_e32 v2, v2
	v_readfirstlane_b32 s1, v2
	s_mul_i32 s2, s2, s1
	s_mul_hi_u32 s2, s1, s2
	s_add_i32 s1, s1, s2
	s_mul_i32 s2, s33, s29
	s_mul_hi_u32 s1, s9, s1
	s_sub_i32 s30, s8, s2
	s_mul_i32 s10, s1, s0
	s_add_i32 s8, s1, 1
	s_sub_i32 s2, s9, s10
	s_sub_i32 s9, s2, s0
	s_cmp_ge_u32 s2, s0
	s_cselect_b32 s1, s8, s1
	s_cselect_b32 s2, s9, s2
	s_add_i32 s8, s1, 1
	s_cmp_ge_u32 s2, s0
	s_cselect_b32 s0, s8, s1
	s_abs_i32 s42, s38
	s_xor_b32 s0, s0, s3
	v_cvt_f32_u32_e32 v2, s42
	s_sub_i32 s43, s0, s3
	v_cmp_le_f32_e64 s0, s25, 0
	s_abs_i32 s41, s43
	s_abs_i32 s35, s30
	v_cvt_f32_u32_e32 v3, s41
	v_rcp_iflag_f32_e32 v2, v2
	s_and_b32 vcc_lo, exec_lo, s0
	s_sub_i32 s0, 0, s42
	s_sub_i32 s1, 0, s41
	v_rcp_iflag_f32_e32 v3, v3
	s_abs_i32 s40, s33
	v_mul_f32_e32 v2, 0x4f7ffffe, v2
	v_mul_f32_e32 v3, 0x4f7ffffe, v3
	v_cvt_u32_f32_e32 v2, v2
	v_cvt_u32_f32_e32 v3, v3
	v_readfirstlane_b32 s3, v2
	v_readfirstlane_b32 s25, v3
	s_mul_i32 s0, s0, s3
	s_mul_hi_u32 s0, s3, s0
	s_mul_i32 s1, s1, s25
	s_add_i32 s3, s3, s0
	s_mul_hi_u32 s1, s25, s1
	s_add_i32 s25, s25, s1
	s_cbranch_vccnz .LBB18_2
; %bb.1:
	v_sub_co_u32 v3, vcc_lo, s30, s36
	v_mov_b32_e32 v2, s26
	s_add_i32 s0, s30, 1
	v_lshlrev_b32_e32 v3, 1, v3
	v_cndmask_b32_e32 v2, s27, v2, vcc_lo
	v_or_b32_e32 v3, 1, v3
	v_cndmask_b32_e64 v3, v3, s0, vcc_lo
	v_cmp_neq_f32_e32 vcc_lo, 1.0, v2
	s_mov_b32 s0, 0x3e76c4e1
	v_cvt_f32_i32_e32 v3, v3
	v_cndmask_b32_e32 v4, 1.0, v3, vcc_lo
	v_cmp_neq_f32_e32 vcc_lo, 0, v4
	v_cndmask_b32_e32 v5, 1.0, v2, vcc_lo
	v_frexp_mant_f32_e64 v2, |v5|
	v_cmp_eq_f32_e64 s2, 0, v5
	v_cmp_gt_f32_e32 vcc_lo, 0x3f2aaaab, v2
	v_cndmask_b32_e64 v3, 1.0, 2.0, vcc_lo
	v_mul_f32_e32 v2, v2, v3
	v_add_f32_e32 v3, 1.0, v2
	v_add_f32_e32 v7, -1.0, v2
	v_rcp_f32_e32 v6, v3
	v_add_f32_e32 v9, -1.0, v3
	v_sub_f32_e32 v2, v2, v9
	v_mul_f32_e32 v8, v7, v6
	v_mul_f32_e32 v10, v3, v8
	v_fma_f32 v3, v8, v3, -v10
	v_fmac_f32_e32 v3, v8, v2
	v_add_f32_e32 v2, v10, v3
	v_sub_f32_e32 v9, v7, v2
	v_sub_f32_e32 v10, v2, v10
	;; [unrolled: 1-line block ×5, first 2 shown]
	v_add_f32_e32 v2, v3, v2
	v_add_f32_e32 v2, v9, v2
	v_mul_f32_e32 v2, v6, v2
	v_add_f32_e32 v6, v8, v2
	v_sub_f32_e32 v3, v6, v8
	v_mul_f32_e32 v7, v6, v6
	v_sub_f32_e32 v8, v2, v3
	v_fma_f32 v2, v6, v6, -v7
	v_add_f32_e32 v3, v8, v8
	v_fmac_f32_e32 v2, v6, v3
	v_add_f32_e32 v9, v7, v2
	v_fmaak_f32 v3, s0, v9, 0x3e91f4c4
	v_sub_f32_e32 v7, v9, v7
	v_mul_f32_e32 v14, v6, v9
	v_fmaak_f32 v3, v9, v3, 0x3ecccdef
	v_sub_f32_e32 v7, v2, v7
	v_fma_f32 v15, v9, v6, -v14
	v_mul_f32_e32 v10, v9, v3
	v_fmac_f32_e32 v15, v9, v8
	v_ldexp_f32 v8, v8, 1
	v_fma_f32 v11, v9, v3, -v10
	v_fmac_f32_e32 v15, v7, v6
	v_fmac_f32_e32 v11, v7, v3
	v_cvt_f64_f32_e64 v[2:3], |v5|
	v_add_f32_e32 v12, v10, v11
	v_sub_f32_e32 v10, v12, v10
	v_add_f32_e32 v13, 0x3f2aaaaa, v12
	v_sub_f32_e32 v10, v11, v10
	v_add_f32_e32 v11, 0xbf2aaaaa, v13
	v_add_f32_e32 v10, 0x31739010, v10
	v_sub_f32_e32 v11, v12, v11
	v_frexp_exp_i32_f64_e32 v2, v[2:3]
	v_add_f32_e32 v9, v10, v11
	v_add_f32_e32 v10, v14, v15
	;; [unrolled: 1-line block ×3, first 2 shown]
	v_sub_f32_e32 v12, v10, v14
	v_sub_f32_e32 v3, v13, v7
	v_mul_f32_e32 v11, v10, v7
	v_sub_f32_e32 v12, v15, v12
	v_add_f32_e32 v3, v9, v3
	v_fma_f32 v9, v10, v7, -v11
	v_subrev_co_ci_u32_e64 v2, null, 0, v2, vcc_lo
	v_fmac_f32_e32 v9, v10, v3
	v_ldexp_f32 v3, v6, 1
	v_cvt_f32_i32_e32 v2, v2
	v_fmac_f32_e32 v9, v12, v7
	v_add_f32_e32 v6, v11, v9
	v_add_f32_e32 v7, v3, v6
	v_sub_f32_e32 v10, v6, v11
	v_mul_f32_e32 v11, 0x3f317218, v2
	v_sub_f32_e32 v3, v7, v3
	v_sub_f32_e32 v9, v9, v10
	v_fma_f32 v10, 0x3f317218, v2, -v11
	v_sub_f32_e32 v3, v6, v3
	v_add_f32_e32 v6, v8, v9
	v_fmamk_f32 v2, v2, 0xb102e308, v10
	v_add_f32_e32 v3, v6, v3
	v_add_f32_e32 v6, v11, v2
	;; [unrolled: 1-line block ×3, first 2 shown]
	v_sub_f32_e32 v11, v6, v11
	v_add_f32_e32 v9, v6, v8
	v_sub_f32_e32 v7, v8, v7
	v_sub_f32_e32 v2, v2, v11
	v_sub_f32_e32 v10, v9, v6
	v_sub_f32_e32 v3, v3, v7
	v_sub_f32_e32 v12, v9, v10
	v_sub_f32_e32 v7, v8, v10
	v_add_f32_e32 v8, v2, v3
	v_sub_f32_e32 v6, v6, v12
	v_add_f32_e32 v6, v7, v6
	v_sub_f32_e32 v7, v8, v2
	;; [unrolled: 2-line block ×3, first 2 shown]
	v_sub_f32_e32 v3, v3, v7
	v_add_f32_e32 v10, v9, v6
	v_sub_f32_e32 v2, v2, v8
	v_sub_f32_e32 v7, v10, v9
	v_add_f32_e32 v2, v3, v2
	v_sub_f32_e32 v3, v6, v7
	v_add_f32_e32 v2, v2, v3
	v_add_f32_e32 v3, v10, v2
	v_sub_f32_e32 v6, v3, v10
	v_mul_f32_e32 v7, v4, v3
	v_sub_f32_e32 v2, v2, v6
	v_fma_f32 v3, v4, v3, -v7
	v_cmp_class_f32_e64 vcc_lo, v7, 0x204
	v_fmac_f32_e32 v3, v4, v2
	v_add_f32_e32 v2, v7, v3
	v_cndmask_b32_e32 v6, v2, v7, vcc_lo
	v_sub_f32_e32 v2, v2, v7
	v_cmp_eq_f32_e32 vcc_lo, 0x42b17218, v6
	v_sub_f32_e32 v2, v3, v2
	v_cndmask_b32_e64 v8, 0, 0x37000000, vcc_lo
	v_cmp_neq_f32_e64 vcc_lo, 0x7f800000, |v6|
	v_sub_f32_e32 v9, v6, v8
	v_cndmask_b32_e32 v2, 0, v2, vcc_lo
	v_trunc_f32_e32 v6, v4
	v_mul_f32_e32 v10, 0x3fb8aa3b, v9
	v_cmp_ngt_f32_e32 vcc_lo, 0xc2ce8ed0, v9
	v_add_f32_e32 v2, v8, v2
	v_fma_f32 v11, 0x3fb8aa3b, v9, -v10
	v_rndne_f32_e32 v12, v10
	v_fmamk_f32 v11, v9, 0x32a5705f, v11
	v_sub_f32_e32 v10, v10, v12
	v_cvt_i32_f32_e32 v7, v12
	v_add_f32_e32 v10, v10, v11
	v_exp_f32_e32 v10, v10
	v_ldexp_f32 v3, v10, v7
	v_mul_f32_e32 v7, 0.5, v4
	v_cndmask_b32_e32 v3, 0, v3, vcc_lo
	v_cmp_nlt_f32_e32 vcc_lo, 0x42b17218, v9
	v_trunc_f32_e32 v10, v7
	v_cndmask_b32_e32 v3, 0x7f800000, v3, vcc_lo
	v_cmp_eq_f32_e32 vcc_lo, v6, v4
	v_cmp_neq_f32_e64 s0, v10, v7
	v_fma_f32 v2, v3, v2, v3
	v_cmp_class_f32_e64 s1, v3, 0x204
	s_and_b32 s0, vcc_lo, s0
	v_cndmask_b32_e64 v6, 1.0, v5, s0
	v_cndmask_b32_e64 v2, v2, v3, s1
	v_cmp_gt_f32_e64 s1, 0, v4
	v_bfi_b32 v2, 0x7fffffff, v2, v6
	s_xor_b32 s1, s1, s2
	v_cndmask_b32_e64 v6, 0, v5, s0
	v_cndmask_b32_e64 v3, 0x7f800000, 0, s1
	v_cmp_class_f32_e64 s0, v5, 0x204
	v_cndmask_b32_e32 v4, 0x7fc00000, v2, vcc_lo
	v_cmp_gt_f32_e32 vcc_lo, 0, v5
	v_bfi_b32 v3, 0x7fffffff, v3, v6
	v_cndmask_b32_e32 v2, v2, v4, vcc_lo
	s_or_b32 vcc_lo, s2, s0
	v_cndmask_b32_e32 v2, v2, v3, vcc_lo
	v_cmp_o_f32_e32 vcc_lo, v5, v5
	v_cndmask_b32_e32 v37, 0x7fc00000, v2, vcc_lo
.LBB18_2:
	s_load_dwordx16 s[8:23], s[4:5], 0x0
	v_cmp_eq_u32_e64 s0, 0, v1
	v_mbcnt_lo_u32_b32 v36, -1, 0
	s_mul_hi_u32 s36, s35, s25
	s_mul_hi_u32 s38, s40, s3
	s_and_saveexec_b32 s25, s0
	s_cbranch_execz .LBB18_7
; %bb.3:
	s_load_dwordx4 s[44:47], s[4:5], 0x70
	v_lshlrev_b32_e32 v2, 4, v0
	v_xor_b32_e32 v13, 1, v36
	s_waitcnt lgkmcnt(0)
	s_mul_i32 s1, s33, s46
	s_mul_i32 s2, s44, s6
	;; [unrolled: 1-line block ×3, first 2 shown]
	s_add_i32 s1, s1, s2
	s_add_i32 s1, s1, s3
	s_ashr_i32 s3, s1, 31
	s_add_u32 s2, s8, s1
	s_addc_u32 s3, s9, s3
	s_mov_b32 s8, exec_lo
	global_load_dwordx4 v[9:12], v2, s[2:3]
	v_xor_b32_e32 v2, 4, v36
	v_cmp_gt_i32_e32 vcc_lo, 32, v2
	v_cndmask_b32_e32 v2, v36, v2, vcc_lo
	v_lshlrev_b32_e32 v2, 2, v2
	s_waitcnt vmcnt(0)
	v_mul_f32_e32 v4, s24, v9
	v_mul_f32_e32 v6, s24, v10
	;; [unrolled: 1-line block ×4, first 2 shown]
	v_xor_b32_e32 v10, 2, v36
	v_max_f32_e64 v3, |v4|, |v6|
	v_fma_f32 v9, s24, v9, v6
	v_cmp_gt_i32_e32 vcc_lo, 32, v10
	v_max3_f32 v3, v3, |v8|, |v7|
	v_fmac_f32_e32 v9, s24, v11
	v_cndmask_b32_e32 v10, v36, v10, vcc_lo
	v_cmp_gt_i32_e32 vcc_lo, 32, v13
	ds_bpermute_b32 v5, v2, v3
	v_fmac_f32_e32 v9, s24, v12
	v_lshlrev_b32_e32 v10, 2, v10
	v_cndmask_b32_e32 v13, v36, v13, vcc_lo
	ds_bpermute_b32 v2, v2, v9
	v_lshlrev_b32_e32 v13, 2, v13
	s_waitcnt lgkmcnt(1)
	v_max_f32_e32 v5, v5, v5
	v_max_f32_e32 v3, v3, v5
	s_waitcnt lgkmcnt(0)
	v_add_f32_e32 v2, v9, v2
	ds_bpermute_b32 v5, v10, v3
	s_waitcnt lgkmcnt(0)
	v_max_f32_e32 v5, v5, v5
	v_max_f32_e32 v3, v3, v5
	ds_bpermute_b32 v5, v13, v3
	s_waitcnt lgkmcnt(0)
	v_max_f32_e32 v5, v5, v5
	v_max_f32_e32 v11, v3, v5
	ds_bpermute_b32 v5, v10, v2
	v_div_scale_f32 v12, null, 0x42fe0000, 0x42fe0000, v11
	v_div_scale_f32 v9, vcc_lo, v11, 0x42fe0000, v11
	v_rcp_f32_e32 v14, v12
	v_fma_f32 v3, -v12, v14, 1.0
	v_fmac_f32_e32 v14, v3, v14
	s_waitcnt lgkmcnt(0)
	v_add_f32_e32 v3, v2, v5
	v_mul_f32_e32 v10, v9, v14
	ds_bpermute_b32 v5, v13, v3
	v_fma_f32 v15, -v12, v10, v9
	v_fmac_f32_e32 v10, v15, v14
	v_fma_f32 v2, -v12, v10, v9
	v_mov_b32_e32 v9, 0
	v_div_fmas_f32 v2, v2, v14, v10
	v_div_fixup_f32 v2, v2, 0x42fe0000, v11
	v_cmpx_neq_f32_e32 0, v2
	s_cbranch_execz .LBB18_5
; %bb.4:
	v_div_scale_f32 v9, null, v2, v2, v4
	v_div_scale_f32 v10, null, v2, v2, v6
	;; [unrolled: 1-line block ×3, first 2 shown]
	v_rcp_f32_e32 v11, v9
	v_div_scale_f32 v13, null, v2, v2, v7
	v_rcp_f32_e32 v14, v10
	v_rcp_f32_e32 v15, v12
	v_div_scale_f32 v19, vcc_lo, v4, v2, v4
	v_rcp_f32_e32 v16, v13
	v_fma_f32 v17, -v9, v11, 1.0
	v_fma_f32 v18, -v10, v14, 1.0
	;; [unrolled: 1-line block ×3, first 2 shown]
	v_fmac_f32_e32 v11, v17, v11
	v_div_scale_f32 v17, s1, v6, v2, v6
	v_fma_f32 v21, -v13, v16, 1.0
	v_fmac_f32_e32 v14, v18, v14
	v_fmac_f32_e32 v15, v20, v15
	v_div_scale_f32 v18, s2, v8, v2, v8
	v_fmac_f32_e32 v16, v21, v16
	v_mul_f32_e32 v21, v19, v11
	v_mul_f32_e32 v22, v17, v14
	;; [unrolled: 1-line block ×3, first 2 shown]
	v_div_scale_f32 v20, s3, v7, v2, v7
	v_fma_f32 v25, -v9, v21, v19
	v_fma_f32 v26, -v10, v22, v17
	;; [unrolled: 1-line block ×3, first 2 shown]
	v_mul_f32_e32 v24, v20, v16
	v_fmac_f32_e32 v21, v25, v11
	v_fmac_f32_e32 v22, v26, v14
	;; [unrolled: 1-line block ×3, first 2 shown]
	v_fma_f32 v28, -v13, v24, v20
	v_fma_f32 v9, -v9, v21, v19
	;; [unrolled: 1-line block ×4, first 2 shown]
	v_fmac_f32_e32 v24, v28, v16
	v_div_fmas_f32 v9, v9, v11, v21
	s_mov_b32 vcc_lo, s1
	v_div_fmas_f32 v10, v10, v14, v22
	s_mov_b32 vcc_lo, s2
	v_div_fixup_f32 v4, v9, v2, v4
	v_div_fmas_f32 v11, v12, v15, v23
	v_fma_f32 v12, -v13, v24, v20
	s_mov_b32 vcc_lo, s3
	v_div_fixup_f32 v6, v10, v2, v6
	v_div_fixup_f32 v8, v11, v2, v8
	v_div_fmas_f32 v11, v12, v16, v24
	v_trunc_f32_e32 v10, v6
	v_trunc_f32_e32 v12, v8
	v_div_fixup_f32 v7, v11, v2, v7
	v_trunc_f32_e32 v11, v4
	v_sub_f32_e32 v14, v6, v10
	v_sub_f32_e32 v9, v8, v12
	v_trunc_f32_e32 v13, v7
	v_sub_f32_e32 v16, v4, v11
	v_cmp_ge_f32_e64 s1, |v9|, 0.5
	v_sub_f32_e32 v15, v7, v13
	v_cndmask_b32_e64 v9, 0, 1.0, s1
	v_cmp_ge_f32_e64 s1, |v14|, 0.5
	v_bfi_b32 v8, 0x7fffffff, v9, v8
	v_cndmask_b32_e64 v9, 0, 1.0, s1
	v_cmp_ge_f32_e64 s1, |v15|, 0.5
	v_add_f32_e32 v8, v12, v8
	v_bfi_b32 v6, 0x7fffffff, v9, v6
	v_cndmask_b32_e64 v14, 0, 1.0, s1
	v_cmp_ge_f32_e64 s1, |v16|, 0.5
	v_mov_b32_e32 v9, 8
	v_cvt_i32_f32_e32 v8, v8
	v_add_f32_e32 v6, v10, v6
	v_bfi_b32 v7, 0x7fffffff, v14, v7
	v_cndmask_b32_e64 v12, 0, 1.0, s1
	v_and_b32_e32 v8, 0xff, v8
	v_cvt_i32_f32_e32 v6, v6
	v_add_f32_e32 v7, v13, v7
	v_bfi_b32 v4, 0x7fffffff, v12, v4
	v_lshlrev_b32_e32 v8, 16, v8
	v_lshlrev_b32_sdwa v6, v9, v6 dst_sel:DWORD dst_unused:UNUSED_PAD src0_sel:DWORD src1_sel:BYTE_0
	v_cvt_i32_f32_e32 v7, v7
	v_add_f32_e32 v4, v11, v4
	v_lshl_or_b32 v7, v7, 24, v8
	v_cvt_i32_f32_e32 v4, v4
	v_and_b32_e32 v4, 0xff, v4
	v_or3_b32 v9, v7, v6, v4
.LBB18_5:
	s_or_b32 exec_lo, exec_lo, s8
	v_and_b32_e32 v4, 7, v0
	v_lshlrev_b32_e32 v6, 2, v0
	v_cmp_eq_u32_e32 vcc_lo, 0, v4
	ds_write_b32 v6, v9
	s_and_b32 exec_lo, exec_lo, vcc_lo
	s_cbranch_execz .LBB18_7
; %bb.6:
	s_waitcnt lgkmcnt(1)
	v_add_f32_e32 v3, v3, v5
	ds_write_b64 v0, v[2:3] offset:128
.LBB18_7:
	s_or_b32 exec_lo, exec_lo, s25
	v_and_b32_e32 v12, 1, v0
	v_mov_b32_e32 v41, 0
	s_waitcnt lgkmcnt(0)
	s_barrier
	buffer_gl0_inv
	v_lshlrev_b32_e32 v10, 2, v12
	s_ashr_i32 s31, s30, 31
	s_ashr_i32 s1, s43, 31
	s_ashr_i32 s44, s33, 31
	s_cmp_eq_u64 s[18:19], 0
	ds_read2_b32 v[18:19], v10 offset1:2
	ds_read2_b32 v[20:21], v10 offset0:4 offset1:6
	ds_read2_b32 v[22:23], v10 offset0:8 offset1:10
	;; [unrolled: 1-line block ×3, first 2 shown]
	ds_read_b128 v[2:5], v41 offset:128
	ds_read_b128 v[6:9], v41 offset:144
	ds_read2_b32 v[26:27], v10 offset0:16 offset1:18
	ds_read2_b32 v[28:29], v10 offset0:20 offset1:22
	;; [unrolled: 1-line block ×4, first 2 shown]
	s_waitcnt lgkmcnt(0)
	s_barrier
	buffer_gl0_inv
	s_cbranch_scc1 .LBB18_9
; %bb.8:
	s_load_dword s2, s[4:5], 0xd0
	s_mov_b32 s3, 0
	s_waitcnt lgkmcnt(0)
	s_mul_i32 s2, s2, s33
	s_add_i32 s2, s2, s6
	s_lshl_b64 s[2:3], s[2:3], 2
	s_add_u32 s2, s18, s2
	s_addc_u32 s3, s19, s3
	s_load_dword s34, s[2:3], 0x0
.LBB18_9:
	v_lshlrev_b32_e32 v11, 5, v1
	v_lshlrev_b32_e32 v40, 2, v0
	s_lshl_b32 s2, s7, 7
	s_mov_b32 s3, 0
	s_waitcnt lgkmcnt(0)
	s_cmp_ge_i32 s2, s34
	v_add_nc_u32_e32 v38, v11, v0
	v_lshlrev_b32_e32 v39, 1, v38
	s_cbranch_scc1 .LBB18_25
; %bb.10:
	s_clause 0x1
	s_load_dwordx4 s[24:27], s[4:5], 0x98
	s_load_dwordx2 s[18:19], s[4:5], 0x8c
	s_mul_i32 s45, s36, s41
	s_xor_b32 s43, s31, s1
	s_sub_i32 s45, s35, s45
	s_add_i32 s46, s36, 1
	s_mul_i32 s47, s38, s42
	s_mul_i32 s48, s39, s6
	s_clause 0x2
	s_load_dwordx2 s[38:39], s[4:5], 0xa8
	s_load_dwordx2 s[8:9], s[4:5], 0xc8
	s_load_dword s49, s[4:5], 0xd4
	v_and_b32_e32 v13, 0x7e, v0
	v_bfe_u32 v15, v0, 3, 27
	v_cmp_eq_u32_e64 s1, 0, v12
	v_and_b32_e32 v41, 12, v40
	v_add_nc_u32_e32 v68, 29, v11
	v_add_nc_u32_e32 v12, v11, v13
	v_mul_hi_u32_u24_e32 v14, 18, v15
	v_mul_u32_u24_e32 v13, 18, v15
	v_add_nc_u32_e32 v57, 28, v11
	v_add_nc_u32_e32 v61, 27, v11
	v_lshlrev_b32_e32 v34, 1, v12
	s_waitcnt lgkmcnt(0)
	s_mul_hi_u32 s35, s24, s33
	s_mul_i32 s50, s24, s44
	s_mul_i32 s25, s25, s33
	s_add_i32 s35, s35, s50
	s_sub_i32 s50, s45, s41
	s_add_i32 s35, s35, s25
	s_cmp_ge_u32 s45, s41
	v_mad_u64_u32 v[16:17], null, s38, s33, v[13:14]
	s_cselect_b32 s25, s46, s36
	s_cselect_b32 s36, s50, s45
	s_add_i32 s45, s25, 1
	s_cmp_ge_u32 s36, s41
	v_mul_lo_u32 v42, v11, s26
	s_cselect_b32 s25, s45, s25
	s_sub_i32 s45, s40, s47
	s_xor_b32 s25, s25, s43
	v_mul_lo_u32 v57, s26, v57
	s_sub_i32 s40, s25, s43
	s_sub_i32 s25, s45, s42
	s_mul_i32 s36, s40, s19
	s_mul_i32 s40, s40, s27
	s_ashr_i32 s27, s36, 31
	s_ashr_i32 s41, s40, 31
	s_cmp_ge_u32 s45, s42
	v_add_nc_u32_e32 v43, s26, v42
	s_cselect_b32 s19, s25, s45
	v_ashrrev_i32_e32 v44, 31, v42
	s_sub_i32 s25, s19, s42
	s_cmp_ge_u32 s19, s42
	v_add_nc_u32_e32 v15, s26, v43
	s_cselect_b32 s19, s25, s19
	s_ashr_i32 s45, s48, 31
	s_xor_b32 s19, s19, s44
	v_ashrrev_i32_e32 v45, 31, v43
	s_sub_i32 s19, s19, s44
	v_add_nc_u32_e32 v48, s26, v15
	s_ashr_i32 s25, s19, 31
	s_mul_hi_u32 s42, s8, s19
	s_mul_i32 s25, s8, s25
	s_mul_i32 s9, s9, s19
	s_add_i32 s25, s42, s25
	v_add_nc_u32_e32 v69, 26, v11
	s_add_i32 s25, s25, s9
	s_cmp_lg_u64 s[14:15], 0
	s_mul_i32 s9, s8, s19
	s_cselect_b32 s19, -1, 0
	s_lshl_b32 s8, s49, 7
	s_add_u32 s42, s10, s36
	s_addc_u32 s43, s11, s27
	s_lshl_b64 s[46:47], s[2:3], 1
	v_mul_lo_u32 v61, s26, v61
	s_add_u32 s9, s9, s46
	s_addc_u32 s25, s25, s47
	s_add_u32 s14, s14, s48
	s_addc_u32 s15, s15, s45
	;; [unrolled: 2-line block ×3, first 2 shown]
	v_add_co_u32 v13, s9, s9, v34
	s_mul_i32 s15, s39, s33
	s_mul_i32 s25, s38, s44
	v_add_co_ci_u32_e64 v14, null, s14, 0, s9
	v_add3_u32 v17, s25, s15, v17
	v_add_co_u32 v34, vcc_lo, v13, 2
	v_add_co_ci_u32_e64 v35, null, 0, v14, vcc_lo
	v_add_co_u32 v46, vcc_lo, v16, v41
	v_add_co_ci_u32_e64 v47, null, 0, v17, vcc_lo
	;; [unrolled: 2-line block ×5, first 2 shown]
	v_add_nc_u32_e32 v16, 31, v11
	v_add_co_u32 v41, vcc_lo, v44, v43
	v_add_nc_u32_e32 v42, s26, v48
	v_add_co_ci_u32_e64 v59, null, v49, v45, vcc_lo
	v_mul_lo_u32 v16, s26, v16
	v_add_co_u32 v46, vcc_lo, v46, s40
	v_add_co_ci_u32_e64 v47, null, s41, v47, vcc_lo
	v_add_nc_u32_e32 v17, 30, v11
	v_add_nc_u32_e32 v50, s26, v42
	v_add_co_u32 v58, vcc_lo, v46, v43
	v_add_co_ci_u32_e64 v60, null, v47, v45, vcc_lo
	v_mul_lo_u32 v45, s26, v17
	v_ashrrev_i32_e32 v43, 31, v16
	v_add_nc_u32_e32 v51, s26, v50
	v_add_co_u32 v62, vcc_lo, v46, v16
	v_add_nc_u32_e32 v73, 25, v11
	v_add_co_ci_u32_e64 v63, null, v47, v43, vcc_lo
	v_add_co_u32 v16, vcc_lo, v44, v16
	v_add_nc_u32_e32 v52, s26, v51
	v_add_co_ci_u32_e64 v17, null, v49, v43, vcc_lo
	v_ashrrev_i32_e32 v43, 31, v45
	v_add_co_u32 v66, vcc_lo, v46, v45
	v_add_nc_u32_e32 v53, s26, v52
	v_add_nc_u32_e32 v75, 24, v11
	v_add_co_ci_u32_e64 v67, null, v47, v43, vcc_lo
	v_add_co_u32 v71, vcc_lo, v44, v45
	v_add_co_ci_u32_e64 v72, null, v49, v43, vcc_lo
	v_mul_lo_u32 v43, s26, v68
	v_add_nc_u32_e32 v56, s26, v53
	v_mul_lo_u32 v45, s26, v69
	v_ashrrev_i32_e32 v69, 31, v57
	v_ashrrev_i32_e32 v74, 31, v61
	v_mul_lo_u32 v73, s26, v73
	v_add_nc_u32_e32 v64, s26, v56
	v_add_nc_u32_e32 v77, 23, v11
	v_ashrrev_i32_e32 v110, 31, v43
	v_add_co_u32 v112, vcc_lo, v46, v43
	v_add_nc_u32_e32 v65, s26, v64
	v_ashrrev_i32_e32 v78, 31, v45
	v_add_co_ci_u32_e64 v113, null, v47, v110, vcc_lo
	v_add_co_u32 v114, vcc_lo, v44, v43
	v_add_co_ci_u32_e64 v110, null, v49, v110, vcc_lo
	v_add_co_u32 v115, vcc_lo, v46, v57
	v_add_nc_u32_e32 v70, s26, v65
	v_add_co_ci_u32_e64 v116, null, v47, v69, vcc_lo
	v_add_co_u32 v117, vcc_lo, v44, v57
	v_add_co_ci_u32_e64 v118, null, v49, v69, vcc_lo
	v_add_co_u32 v119, vcc_lo, v46, v61
	v_mul_lo_u32 v75, s26, v75
	v_add_co_ci_u32_e64 v120, null, v47, v74, vcc_lo
	v_add_co_u32 v121, vcc_lo, v44, v61
	v_add_nc_u32_e32 v68, s26, v70
	v_add_nc_u32_e32 v80, 22, v11
	v_add_co_ci_u32_e64 v122, null, v49, v74, vcc_lo
	v_add_co_u32 v123, vcc_lo, v46, v45
	v_mul_lo_u32 v77, s26, v77
	v_ashrrev_i32_e32 v86, 31, v73
	v_add_co_ci_u32_e64 v124, null, v47, v78, vcc_lo
	v_add_co_u32 v125, vcc_lo, v44, v45
	v_add_nc_u32_e32 v76, s26, v68
	v_add_nc_u32_e32 v81, 21, v11
	v_add_co_ci_u32_e64 v126, null, v49, v78, vcc_lo
	v_add_co_u32 v127, vcc_lo, v46, v73
	v_mul_lo_u32 v80, s26, v80
	v_ashrrev_i32_e32 v87, 31, v75
	v_add_co_ci_u32_e64 v128, null, v47, v86, vcc_lo
	v_add_co_u32 v129, vcc_lo, v44, v73
	v_add_nc_u32_e32 v82, 20, v11
	v_add_co_ci_u32_e64 v130, null, v49, v86, vcc_lo
	v_add_co_u32 v131, vcc_lo, v46, v75
	v_add_nc_u32_e32 v79, s26, v76
	v_mul_lo_u32 v81, s26, v81
	v_ashrrev_i32_e32 v88, 31, v77
	v_add_co_ci_u32_e64 v132, null, v47, v87, vcc_lo
	v_add_co_u32 v133, vcc_lo, v44, v75
	v_add_nc_u32_e32 v84, 19, v11
	v_add_co_ci_u32_e64 v134, null, v49, v87, vcc_lo
	v_add_co_u32 v135, vcc_lo, v46, v77
	v_mul_lo_u32 v82, s26, v82
	v_ashrrev_i32_e32 v90, 31, v80
	v_add_nc_u32_e32 v83, s26, v79
	v_add_co_ci_u32_e64 v136, null, v47, v88, vcc_lo
	v_add_co_u32 v137, vcc_lo, v44, v77
	v_add_co_ci_u32_e64 v138, null, v49, v88, vcc_lo
	v_add_co_u32 v139, vcc_lo, v46, v80
	v_mul_lo_u32 v84, s26, v84
	v_ashrrev_i32_e32 v91, 31, v81
	v_add_co_ci_u32_e64 v140, null, v47, v90, vcc_lo
	v_add_co_u32 v141, vcc_lo, v44, v80
	v_add_nc_u32_e32 v85, s26, v83
	v_add_co_ci_u32_e64 v142, null, v49, v90, vcc_lo
	v_add_co_u32 v143, vcc_lo, v46, v81
	v_ashrrev_i32_e32 v92, 31, v82
	v_add_co_ci_u32_e64 v144, null, v47, v91, vcc_lo
	v_add_co_u32 v145, vcc_lo, v44, v81
	v_add_nc_u32_e32 v89, s26, v85
	v_add_co_ci_u32_e64 v146, null, v49, v91, vcc_lo
	v_add_co_u32 v147, vcc_lo, v46, v82
	v_ashrrev_i32_e32 v93, 31, v84
	v_add_co_ci_u32_e64 v148, null, v47, v92, vcc_lo
	v_add_co_u32 v149, vcc_lo, v44, v82
	v_add_co_ci_u32_e64 v150, null, v49, v92, vcc_lo
	v_add_co_u32 v151, vcc_lo, v46, v84
	v_ashrrev_i32_e32 v94, 31, v89
	v_add_co_ci_u32_e64 v152, null, v47, v93, vcc_lo
	v_add_co_u32 v153, vcc_lo, v44, v84
	;; [unrolled: 5-line block ×16, first 2 shown]
	v_add_co_ci_u32_e64 v210, null, v49, v107, vcc_lo
	v_add_co_u32 v211, vcc_lo, v46, v42
	v_add_co_ci_u32_e64 v212, null, v47, v108, vcc_lo
	v_add_co_u32 v213, vcc_lo, v44, v42
	v_and_b32_e32 v42, 30, v36
	v_ashrrev_i32_e32 v109, 31, v48
	v_add_co_ci_u32_e64 v214, null, v49, v108, vcc_lo
	v_add_co_u32 v215, vcc_lo, v46, v48
	v_ashrrev_i32_e32 v111, 31, v15
	v_add_nc_u32_e32 v42, 2, v42
	v_xor_b32_e32 v43, 1, v36
	v_add_co_ci_u32_e64 v216, null, v47, v109, vcc_lo
	v_add_co_u32 v217, vcc_lo, v44, v48
	v_add_co_ci_u32_e64 v218, null, v49, v109, vcc_lo
	v_add_co_u32 v219, vcc_lo, v46, v15
	v_add_co_ci_u32_e64 v220, null, v47, v111, vcc_lo
	v_cmp_lt_i32_e32 vcc_lo, v43, v42
	v_mul_lo_u32 v12, v12, s18
	v_xor_b32_e32 v45, 8, v36
	v_xor_b32_e32 v46, 16, v36
	s_mul_i32 s38, s24, s33
	v_cndmask_b32_e32 v42, v36, v43, vcc_lo
	v_xor_b32_e32 v43, 2, v36
	v_add_co_u32 v15, vcc_lo, v44, v15
	v_add_co_ci_u32_e64 v221, null, v49, v111, vcc_lo
	v_xor_b32_e32 v44, 4, v36
	v_cmp_gt_i32_e32 vcc_lo, 32, v43
	v_add_nc_u32_e32 v52, s18, v12
	s_mov_b32 s9, s3
	v_add_co_u32 v10, s3, s38, v10
	v_cndmask_b32_e32 v43, v36, v43, vcc_lo
	v_cmp_gt_i32_e32 vcc_lo, 32, v44
	v_ashrrev_i32_e32 v53, 31, v52
	v_add_co_ci_u32_e64 v56, null, s35, 0, s3
	s_lshl_b64 s[14:15], s[8:9], 1
	v_cndmask_b32_e32 v44, v36, v44, vcc_lo
	v_cmp_gt_i32_e32 vcc_lo, 32, v45
	s_add_u32 s3, s12, s40
	s_addc_u32 s9, s13, s41
	s_add_u32 s39, s42, s38
	v_lshlrev_b32_e32 v47, 1, v11
	v_cndmask_b32_e32 v45, v36, v45, vcc_lo
	v_cmp_gt_i32_e32 vcc_lo, 32, v46
	s_addc_u32 s40, s43, s35
	v_lshlrev_b32_e32 v42, 2, v42
	v_lshlrev_b32_e32 v43, 2, v43
	v_lshlrev_b32_e32 v44, 2, v44
	v_cndmask_b32_e32 v46, v36, v46, vcc_lo
	v_add_co_u32 v48, vcc_lo, v10, v52
	v_add_co_ci_u32_e64 v49, null, v56, v53, vcc_lo
	v_lshlrev_b32_e32 v45, 2, v45
	v_add_co_u32 v48, vcc_lo, s42, v48
	v_add_co_ci_u32_e64 v49, null, s43, v49, vcc_lo
	v_add_co_u32 v50, vcc_lo, s3, v13
	v_add_co_ci_u32_e64 v51, null, s9, v14, vcc_lo
	;; [unrolled: 2-line block ×3, first 2 shown]
	v_ashrrev_i32_e32 v13, 31, v12
	v_add_co_u32 v52, vcc_lo, s39, v52
	v_add_co_ci_u32_e64 v53, null, s40, v53, vcc_lo
	v_add_co_u32 v10, vcc_lo, v10, v12
	v_add_co_ci_u32_e64 v11, null, v11, v13, vcc_lo
	;; [unrolled: 2-line block ×6, first 2 shown]
	v_add_co_u32 v58, vcc_lo, s12, v41
	s_add_u32 s3, s38, s36
	s_addc_u32 s9, s35, s27
	v_add_co_ci_u32_e64 v59, null, s13, v59, vcc_lo
	v_add_co_u32 v60, vcc_lo, v10, 2
	s_add_u32 s3, s10, s3
	v_add_co_ci_u32_e64 v61, null, 0, v11, vcc_lo
	s_addc_u32 s9, s11, s9
	v_add_co_u32 v10, vcc_lo, s3, v12
	v_add_co_ci_u32_e64 v11, null, s9, v13, vcc_lo
	v_add_co_u32 v12, vcc_lo, s12, v62
	v_add_co_ci_u32_e64 v13, null, s13, v63, vcc_lo
	;; [unrolled: 2-line block ×91, first 2 shown]
	v_add_co_u32 v182, vcc_lo, s12, v15
	v_lshlrev_b32_e32 v46, 2, v46
	v_add_co_ci_u32_e64 v183, null, s13, v221, vcc_lo
	v_mov_b32_e32 v41, 0
	v_and_b32_e32 v184, 4, v0
	v_mov_b32_e32 v10, 0xfeffffff
	v_mov_b32_e32 v14, 0
	;; [unrolled: 1-line block ×4, first 2 shown]
	s_mul_i32 s24, s26, s2
	s_mul_i32 s25, s18, s2
	;; [unrolled: 1-line block ×4, first 2 shown]
	s_mov_b32 s10, 0xbbbac73d
.LBB18_11:                              ; =>This Inner Loop Header: Depth=1
	v_add_co_u32 v11, vcc_lo, v62, s25
	v_add_co_ci_u32_e64 v12, null, 0, v63, vcc_lo
	v_add_co_u32 v16, vcc_lo, v54, s25
	v_add_co_ci_u32_e64 v17, null, 0, v55, vcc_lo
	v_mov_b32_e32 v187, 0
	v_mov_b32_e32 v190, 0
	;; [unrolled: 1-line block ×3, first 2 shown]
	s_clause 0x1
	global_load_dword v13, v[16:17], off offset:2
	global_load_dword v188, v[16:17], off offset:10
	s_waitcnt vmcnt(1)
	v_and_b32_e32 v186, 0xf0f0f0f, v13
	s_waitcnt vmcnt(0)
	v_and_b32_e32 v189, 0xf0f0f0f, v188
	v_lshrrev_b32_e32 v13, 4, v13
	v_dot4c_i32_i8 v187, v186, v18
	global_load_ushort v186, v[11:12], off offset:-54
	v_dot4c_i32_i8 v190, v189, v19
	v_and_b32_e32 v13, 0xf0f0f0f, v13
	v_cvt_f32_i32_e32 v187, v187
	v_cvt_f32_i32_e32 v189, v190
	v_mov_b32_e32 v190, 0
	v_fma_f32 v187, v2, v187, -v3
	v_fma_f32 v189, v2, v189, -v3
	s_waitcnt vmcnt(0)
	v_fma_mix_f32 v187, v187, v186, 0 op_sel_hi:[0,1,0]
	v_fma_mix_f32 v187, v189, v186, v187 op_sel_hi:[0,1,0]
	v_mov_b32_e32 v189, 0
	v_dot4c_i32_i8 v189, v13, v20
	v_cvt_f32_i32_e32 v13, v189
	v_fma_f32 v13, v2, v13, -v3
	v_fma_mix_f32 v13, v13, v186, v187 op_sel_hi:[0,1,0]
	v_lshrrev_b32_e32 v187, 4, v188
	v_mov_b32_e32 v188, 0
	v_and_b32_e32 v187, 0xf0f0f0f, v187
	v_dot4c_i32_i8 v188, v187, v21
	v_cvt_f32_i32_e32 v187, v188
	v_mov_b32_e32 v188, 0
	v_fma_f32 v187, v2, v187, -v3
	v_fma_mix_f32 v13, v187, v186, v13 op_sel_hi:[0,1,0]
	global_load_dword v186, v[16:17], off offset:20
	s_waitcnt vmcnt(0)
	v_and_b32_e32 v187, 0xf0f0f0f, v186
	v_lshrrev_b32_e32 v186, 4, v186
	v_dot4c_i32_i8 v188, v187, v22
	global_load_ushort v187, v[11:12], off offset:-36
	v_and_b32_e32 v186, 0xf0f0f0f, v186
	v_cvt_f32_i32_e32 v188, v188
	v_fma_f32 v188, v4, v188, -v5
	s_waitcnt vmcnt(0)
	v_fma_mix_f32 v13, v188, v187, v13 op_sel_hi:[0,1,0]
	global_load_dword v188, v[16:17], off offset:28
	s_waitcnt vmcnt(0)
	v_and_b32_e32 v189, 0xf0f0f0f, v188
	v_dot4c_i32_i8 v190, v189, v23
	v_cvt_f32_i32_e32 v189, v190
	v_fma_f32 v189, v4, v189, -v5
	v_fma_mix_f32 v13, v189, v187, v13 op_sel_hi:[0,1,0]
	v_mov_b32_e32 v189, 0
	v_dot4c_i32_i8 v189, v186, v24
	v_lshrrev_b32_e32 v186, 4, v188
	v_mov_b32_e32 v188, 0
	v_and_b32_e32 v186, 0xf0f0f0f, v186
	v_dot4c_i32_i8 v188, v186, v25
	v_cvt_f32_i32_e32 v186, v189
	v_cvt_f32_i32_e32 v188, v188
	v_fma_f32 v186, v4, v186, -v5
	v_fma_f32 v188, v4, v188, -v5
	v_fma_mix_f32 v13, v186, v187, v13 op_sel_hi:[0,1,0]
	global_load_dword v186, v[16:17], off offset:38
	v_fma_mix_f32 v13, v188, v187, v13 op_sel_hi:[0,1,0]
	v_mov_b32_e32 v188, 0
	s_waitcnt vmcnt(0)
	v_and_b32_e32 v187, 0xf0f0f0f, v186
	v_lshrrev_b32_e32 v186, 4, v186
	v_dot4c_i32_i8 v188, v187, v26
	global_load_ushort v187, v[11:12], off offset:-18
	global_load_dword v189, v[16:17], off offset:46
	v_and_b32_e32 v186, 0xf0f0f0f, v186
	v_cvt_f32_i32_e32 v188, v188
	v_fma_f32 v188, v6, v188, -v7
	s_waitcnt vmcnt(1)
	v_fma_mix_f32 v13, v188, v187, v13 op_sel_hi:[0,1,0]
	s_waitcnt vmcnt(0)
	v_and_b32_e32 v190, 0xf0f0f0f, v189
	v_mov_b32_e32 v188, 0
	v_dot4c_i32_i8 v191, v190, v27
	v_dot4c_i32_i8 v188, v186, v28
	v_lshrrev_b32_e32 v186, 4, v189
	v_mov_b32_e32 v189, 0
	v_cvt_f32_i32_e32 v190, v191
	v_and_b32_e32 v186, 0xf0f0f0f, v186
	v_fma_f32 v190, v6, v190, -v7
	v_dot4c_i32_i8 v189, v186, v29
	v_cvt_f32_i32_e32 v186, v188
	v_fma_mix_f32 v13, v190, v187, v13 op_sel_hi:[0,1,0]
	v_cvt_f32_i32_e32 v188, v189
	v_fma_f32 v186, v6, v186, -v7
	v_fma_f32 v188, v6, v188, -v7
	v_fma_mix_f32 v13, v186, v187, v13 op_sel_hi:[0,1,0]
	global_load_dword v186, v[16:17], off offset:56
	global_load_ushort v11, v[11:12], off
	global_load_dword v12, v[16:17], off offset:64
	v_mov_b32_e32 v17, 0
	v_fma_mix_f32 v13, v188, v187, v13 op_sel_hi:[0,1,0]
	v_mov_b32_e32 v188, 0
	s_waitcnt vmcnt(2)
	v_and_b32_e32 v187, 0xf0f0f0f, v186
	s_waitcnt vmcnt(0)
	v_and_b32_e32 v16, 0xf0f0f0f, v12
	v_lshrrev_b32_e32 v12, 4, v12
	v_dot4c_i32_i8 v188, v187, v30
	v_dot4c_i32_i8 v17, v16, v31
	v_and_b32_e32 v12, 0xf0f0f0f, v12
	v_cvt_f32_i32_e32 v16, v188
	v_cvt_f32_i32_e32 v17, v17
	v_fma_f32 v16, v8, v16, -v9
	v_fma_f32 v17, v8, v17, -v9
	v_fma_mix_f32 v13, v16, v11, v13 op_sel_hi:[0,1,0]
	v_lshrrev_b32_e32 v16, 4, v186
	v_fma_mix_f32 v13, v17, v11, v13 op_sel_hi:[0,1,0]
	v_and_b32_e32 v16, 0xf0f0f0f, v16
	v_mov_b32_e32 v17, 0
	v_dot4c_i32_i8 v17, v16, v32
	v_mov_b32_e32 v16, 0
	v_dot4c_i32_i8 v16, v12, v33
	v_cvt_f32_i32_e32 v12, v17
	v_cvt_f32_i32_e32 v16, v16
	v_fma_f32 v12, v8, v12, -v9
	v_fma_f32 v16, v8, v16, -v9
	v_fma_mix_f32 v12, v12, v11, v13 op_sel_hi:[0,1,0]
	v_fma_mix_f32 v11, v16, v11, v12 op_sel_hi:[0,1,0]
	ds_bpermute_b32 v12, v42, v11
	s_waitcnt lgkmcnt(0)
	v_add_f32_e32 v11, v11, v12
                                        ; implicit-def: $vgpr12
	v_cmp_ngt_f32_e64 s11, 0x3f200000, |v11|
	s_and_saveexec_b32 s12, s11
	s_xor_b32 s11, exec_lo, s12
	s_cbranch_execz .LBB18_13
; %bb.12:                               ;   in Loop: Header=BB18_11 Depth=1
	v_add_f32_e64 v12, |v11|, |v11|
	v_mul_f32_e32 v13, 0x3fb8aa3b, v12
	v_cmp_ngt_f32_e32 vcc_lo, 0xc2ce8ed0, v12
	v_rndne_f32_e32 v16, v13
	v_fma_f32 v17, 0x3fb8aa3b, v12, -v13
	v_sub_f32_e32 v13, v13, v16
	v_fmac_f32_e32 v17, 0x32a5705f, v12
	v_cvt_i32_f32_e32 v16, v16
	v_add_f32_e32 v13, v13, v17
	v_exp_f32_e32 v13, v13
	v_ldexp_f32 v13, v13, v16
	v_cndmask_b32_e32 v13, 0, v13, vcc_lo
	v_cmp_nlt_f32_e32 vcc_lo, 0x42b17218, v12
	v_cndmask_b32_e32 v12, 0x7f800000, v13, vcc_lo
	v_add_f32_e32 v12, 1.0, v12
	v_rcp_f32_e32 v12, v12
	v_fma_f32 v12, v12, -2.0, 1.0
.LBB18_13:                              ;   in Loop: Header=BB18_11 Depth=1
	s_andn2_saveexec_b32 s11, s11
	s_cbranch_execz .LBB18_15
; %bb.14:                               ;   in Loop: Header=BB18_11 Depth=1
	v_mul_f32_e32 v12, v11, v11
	v_fmaak_f32 v13, s10, v12, 0x3ca908c9
	v_fmaak_f32 v13, v12, v13, 0xbd5c1c4e
	;; [unrolled: 1-line block ×4, first 2 shown]
	v_mul_f32_e64 v13, |v11|, v13
	v_fma_f32 v12, v12, v13, |v11|
.LBB18_15:                              ;   in Loop: Header=BB18_11 Depth=1
	s_or_b32 exec_lo, exec_lo, s11
	v_bfi_b32 v11, 0x7fffffff, v12, v11
	s_andn2_b32 vcc_lo, exec_lo, s19
	v_mul_f32_e32 v11, s37, v11
	s_cbranch_vccnz .LBB18_17
; %bb.16:                               ;   in Loop: Header=BB18_11 Depth=1
	global_load_ushort v12, v[34:35], off offset:-2
	s_waitcnt vmcnt(0)
	v_fma_mix_f32 v11, v37, v12, v11 op_sel_hi:[0,1,0]
.LBB18_17:                              ;   in Loop: Header=BB18_11 Depth=1
	v_add_co_u32 v12, vcc_lo, v48, s25
	v_add_co_ci_u32_e64 v13, null, 0, v49, vcc_lo
	v_add_co_u32 v16, vcc_lo, v52, s25
	v_add_co_ci_u32_e64 v17, null, 0, v53, vcc_lo
	s_clause 0x5
	global_load_dword v186, v[12:13], off offset:2
	global_load_dword v187, v[12:13], off offset:10
	;; [unrolled: 1-line block ×6, first 2 shown]
	s_clause 0x1
	global_load_ushort v192, v[16:17], off
	global_load_ushort v193, v[16:17], off offset:18
	s_clause 0x1
	global_load_dword v194, v[12:13], off offset:56
	global_load_dword v12, v[12:13], off offset:64
	s_clause 0x1
	global_load_ushort v13, v[16:17], off offset:36
	global_load_ushort v16, v[16:17], off offset:54
	v_mov_b32_e32 v17, 0
	v_mov_b32_e32 v195, 0
	v_mov_b32_e32 v196, 0
	v_mov_b32_e32 v197, 0
	v_mov_b32_e32 v198, 0
	v_mov_b32_e32 v199, 0
	v_mov_b32_e32 v200, 0
	v_mov_b32_e32 v201, 0
	v_mov_b32_e32 v202, 0
	v_mov_b32_e32 v203, 0
	v_mov_b32_e32 v204, 0
	v_mov_b32_e32 v205, 0
	v_mov_b32_e32 v206, 0
	v_mov_b32_e32 v207, 0
	v_mov_b32_e32 v208, 0
	v_mov_b32_e32 v209, 0
	s_waitcnt vmcnt(11)
	v_and_b32_e32 v210, 0xf0f0f0f, v186
	s_waitcnt vmcnt(10)
	v_and_b32_e32 v211, 0xf0f0f0f, v187
	v_lshrrev_b32_e32 v186, 4, v186
	v_lshrrev_b32_e32 v187, 4, v187
	s_waitcnt vmcnt(9)
	v_and_b32_e32 v212, 0xf0f0f0f, v188
	v_dot4c_i32_i8 v17, v210, v18
	v_dot4c_i32_i8 v195, v211, v19
	v_and_b32_e32 v186, 0xf0f0f0f, v186
	v_and_b32_e32 v187, 0xf0f0f0f, v187
	s_waitcnt vmcnt(8)
	v_and_b32_e32 v213, 0xf0f0f0f, v189
	v_cvt_f32_i32_e32 v17, v17
	v_cvt_f32_i32_e32 v195, v195
	v_dot4c_i32_i8 v196, v186, v20
	v_dot4c_i32_i8 v197, v187, v21
	v_lshrrev_b32_e32 v188, 4, v188
	v_fma_f32 v17, v2, v17, -v3
	v_fma_f32 v187, v2, v195, -v3
	v_cvt_f32_i32_e32 v195, v196
	v_dot4c_i32_i8 v198, v212, v22
	v_cvt_f32_i32_e32 v196, v197
	s_waitcnt vmcnt(5)
	v_fma_mix_f32 v17, v17, v192, 0 op_sel_hi:[0,1,0]
	v_lshrrev_b32_e32 v189, 4, v189
	v_fma_f32 v195, v2, v195, -v3
	v_dot4c_i32_i8 v199, v213, v23
	v_fma_f32 v196, v2, v196, -v3
	v_fma_mix_f32 v17, v187, v192, v17 op_sel_hi:[0,1,0]
	v_and_b32_e32 v187, 0xf0f0f0f, v188
	v_cvt_f32_i32_e32 v188, v198
	v_and_b32_e32 v189, 0xf0f0f0f, v189
	v_and_b32_e32 v210, 0xf0f0f0f, v190
	v_fma_mix_f32 v17, v195, v192, v17 op_sel_hi:[0,1,0]
	v_cvt_f32_i32_e32 v195, v199
	v_dot4c_i32_i8 v200, v187, v24
	v_fma_f32 v187, v4, v188, -v5
	v_and_b32_e32 v186, 0xf0f0f0f, v191
	v_fma_mix_f32 v17, v196, v192, v17 op_sel_hi:[0,1,0]
	v_lshrrev_b32_e32 v188, 4, v191
	v_dot4c_i32_i8 v201, v189, v25
	v_fma_f32 v189, v4, v195, -v5
	v_cvt_f32_i32_e32 v191, v200
	s_waitcnt vmcnt(4)
	v_fma_mix_f32 v17, v187, v193, v17 op_sel_hi:[0,1,0]
	v_lshrrev_b32_e32 v190, 4, v190
	v_dot4c_i32_i8 v202, v210, v26
	v_cvt_f32_i32_e32 v192, v201
	v_fma_f32 v191, v4, v191, -v5
	v_fma_mix_f32 v17, v189, v193, v17 op_sel_hi:[0,1,0]
	v_dot4c_i32_i8 v203, v186, v27
	v_and_b32_e32 v186, 0xf0f0f0f, v190
	v_cvt_f32_i32_e32 v189, v202
	v_fma_f32 v190, v4, v192, -v5
	v_fma_mix_f32 v17, v191, v193, v17 op_sel_hi:[0,1,0]
	v_and_b32_e32 v188, 0xf0f0f0f, v188
	v_cvt_f32_i32_e32 v191, v203
	v_dot4c_i32_i8 v204, v186, v28
	v_fma_f32 v186, v6, v189, -v7
	v_fma_mix_f32 v17, v190, v193, v17 op_sel_hi:[0,1,0]
	s_waitcnt vmcnt(3)
	v_and_b32_e32 v187, 0xf0f0f0f, v194
	v_dot4c_i32_i8 v205, v188, v29
	v_fma_f32 v188, v6, v191, -v7
	v_cvt_f32_i32_e32 v190, v204
	s_waitcnt vmcnt(1)
	v_fma_mix_f32 v17, v186, v13, v17 op_sel_hi:[0,1,0]
	v_and_b32_e32 v189, 0xf0f0f0f, v12
	v_lshrrev_b32_e32 v186, 4, v194
	v_dot4c_i32_i8 v206, v187, v30
	v_cvt_f32_i32_e32 v187, v205
	v_fma_f32 v190, v6, v190, -v7
	v_fma_mix_f32 v17, v188, v13, v17 op_sel_hi:[0,1,0]
	v_lshrrev_b32_e32 v12, 4, v12
	v_dot4c_i32_i8 v207, v189, v31
	v_cvt_f32_i32_e32 v188, v206
	v_fma_f32 v187, v6, v187, -v7
	v_fma_mix_f32 v17, v190, v13, v17 op_sel_hi:[0,1,0]
	v_and_b32_e32 v186, 0xf0f0f0f, v186
	v_and_b32_e32 v12, 0xf0f0f0f, v12
	v_cvt_f32_i32_e32 v189, v207
	v_fma_f32 v188, v8, v188, -v9
	v_fma_mix_f32 v13, v187, v13, v17 op_sel_hi:[0,1,0]
	v_dot4c_i32_i8 v208, v186, v32
	v_dot4c_i32_i8 v209, v12, v33
	v_fma_f32 v12, v8, v189, -v9
	s_waitcnt vmcnt(0)
	v_fma_mix_f32 v13, v188, v16, v13 op_sel_hi:[0,1,0]
	v_cvt_f32_i32_e32 v17, v208
	v_cvt_f32_i32_e32 v186, v209
	v_fma_mix_f32 v12, v12, v16, v13 op_sel_hi:[0,1,0]
	v_fma_f32 v13, v8, v17, -v9
	v_fma_f32 v17, v8, v186, -v9
	v_fma_mix_f32 v12, v13, v16, v12 op_sel_hi:[0,1,0]
	v_fma_mix_f32 v12, v17, v16, v12 op_sel_hi:[0,1,0]
	ds_bpermute_b32 v13, v42, v12
	s_waitcnt lgkmcnt(0)
	v_add_f32_e32 v12, v12, v13
                                        ; implicit-def: $vgpr13
	v_cmp_ngt_f32_e64 s11, 0x3f200000, |v12|
	s_and_saveexec_b32 s12, s11
	s_xor_b32 s11, exec_lo, s12
	s_cbranch_execz .LBB18_19
; %bb.18:                               ;   in Loop: Header=BB18_11 Depth=1
	v_add_f32_e64 v13, |v12|, |v12|
	v_mul_f32_e32 v16, 0x3fb8aa3b, v13
	v_cmp_ngt_f32_e32 vcc_lo, 0xc2ce8ed0, v13
	v_rndne_f32_e32 v17, v16
	v_fma_f32 v186, 0x3fb8aa3b, v13, -v16
	v_sub_f32_e32 v16, v16, v17
	v_fmac_f32_e32 v186, 0x32a5705f, v13
	v_cvt_i32_f32_e32 v17, v17
	v_add_f32_e32 v16, v16, v186
	v_exp_f32_e32 v16, v16
	v_ldexp_f32 v16, v16, v17
	v_cndmask_b32_e32 v16, 0, v16, vcc_lo
	v_cmp_nlt_f32_e32 vcc_lo, 0x42b17218, v13
	v_cndmask_b32_e32 v13, 0x7f800000, v16, vcc_lo
	v_add_f32_e32 v13, 1.0, v13
	v_rcp_f32_e32 v13, v13
	v_fma_f32 v13, v13, -2.0, 1.0
.LBB18_19:                              ;   in Loop: Header=BB18_11 Depth=1
	s_andn2_saveexec_b32 s11, s11
	s_cbranch_execz .LBB18_21
; %bb.20:                               ;   in Loop: Header=BB18_11 Depth=1
	v_mul_f32_e32 v13, v12, v12
	v_fmaak_f32 v16, s10, v13, 0x3ca908c9
	v_fmaak_f32 v16, v13, v16, 0xbd5c1c4e
	;; [unrolled: 1-line block ×4, first 2 shown]
	v_mul_f32_e64 v16, |v12|, v16
	v_fma_f32 v13, v13, v16, |v12|
.LBB18_21:                              ;   in Loop: Header=BB18_11 Depth=1
	s_or_b32 exec_lo, exec_lo, s11
	v_bfi_b32 v12, 0x7fffffff, v13, v12
	s_andn2_b32 vcc_lo, exec_lo, s19
	v_mul_f32_e32 v12, s37, v12
	s_cbranch_vccnz .LBB18_23
; %bb.22:                               ;   in Loop: Header=BB18_11 Depth=1
	global_load_ushort v13, v[34:35], off
	s_waitcnt vmcnt(0)
	v_fma_mix_f32 v12, v37, v13, v12 op_sel_hi:[0,1,0]
.LBB18_23:                              ;   in Loop: Header=BB18_11 Depth=1
	v_add_co_u32 v16, vcc_lo, v50, s24
	v_add_co_ci_u32_e64 v17, null, 0, v51, vcc_lo
	v_add_co_u32 v186, vcc_lo, v56, s24
	v_add_co_ci_u32_e64 v187, null, 0, v57, vcc_lo
	;; [unrolled: 2-line block ×4, first 2 shown]
	global_load_dword v189, v[186:187], off
	global_load_ushort v190, v[16:17], off
	global_load_dword v191, v[191:192], off
	global_load_ushort v192, v[193:194], off
	v_add_co_u32 v16, vcc_lo, v180, s24
	v_add_co_ci_u32_e64 v17, null, 0, v181, vcc_lo
	v_add_co_u32 v186, vcc_lo, v182, s24
	v_add_co_ci_u32_e64 v187, null, 0, v183, vcc_lo
	global_load_dword v193, v[16:17], off
	v_add_co_u32 v16, vcc_lo, v178, s24
	v_add_co_ci_u32_e64 v17, null, 0, v179, vcc_lo
	v_add_co_u32 v194, vcc_lo, v176, s24
	v_add_co_ci_u32_e64 v195, null, 0, v177, vcc_lo
	;; [unrolled: 2-line block ×4, first 2 shown]
	global_load_ushort v196, v[186:187], off
	global_load_dword v197, v[194:195], off
	global_load_ushort v199, v[16:17], off
	global_load_dword v201, v[200:201], off
	global_load_ushort v204, v[202:203], off
	v_add_co_u32 v16, vcc_lo, v170, s24
	v_add_co_ci_u32_e64 v17, null, 0, v171, vcc_lo
	v_add_co_u32 v186, vcc_lo, v168, s24
	v_add_co_ci_u32_e64 v187, null, 0, v169, vcc_lo
	;; [unrolled: 2-line block ×5, first 2 shown]
	global_load_dword v225, v[186:187], off
	global_load_ushort v226, v[16:17], off
	global_load_dword v227, v[202:203], off
	global_load_ushort v228, v[194:195], off
	global_load_dword v229, v[205:206], off
	v_add_f32_e32 v13, 0x40051340, v11
	v_add_f32_e32 v16, 0x40051340, v12
	v_cndmask_b32_e64 v195, v12, v11, s1
	v_add_co_u32 v11, vcc_lo, v156, s24
	v_add_co_ci_u32_e64 v12, null, 0, v157, vcc_lo
	v_max3_f32 v13, v10, v13, v16
	s_add_i32 s2, s2, s8
	global_load_dword v194, v[11:12], off
	s_cmp_ge_i32 s2, s34
	ds_bpermute_b32 v16, v43, v13
	s_waitcnt lgkmcnt(0)
	v_max_f32_e32 v16, v16, v16
	v_max_f32_e32 v13, v13, v16
	ds_bpermute_b32 v16, v44, v13
	s_waitcnt lgkmcnt(0)
	v_max_f32_e32 v16, v16, v16
	v_max_f32_e32 v13, v13, v16
	;; [unrolled: 4-line block ×3, first 2 shown]
	v_add_co_u32 v16, vcc_lo, v162, s24
	v_add_co_ci_u32_e64 v17, null, 0, v163, vcc_lo
	ds_bpermute_b32 v186, v46, v13
	v_add_co_u32 v11, vcc_lo, v158, s24
	global_load_ushort v203, v[16:17], off
	v_add_co_ci_u32_e64 v12, null, 0, v159, vcc_lo
	v_add_co_u32 v187, vcc_lo, v154, s24
	v_add_co_ci_u32_e64 v188, null, 0, v155, vcc_lo
	v_add_co_u32 v16, vcc_lo, v152, s24
	v_add_co_ci_u32_e64 v17, null, 0, v153, vcc_lo
	global_load_ushort v230, v[11:12], off
	global_load_dword v231, v[16:17], off
	v_add_co_u32 v209, vcc_lo, v150, s24
	v_add_co_ci_u32_e64 v210, null, 0, v151, vcc_lo
	s_waitcnt lgkmcnt(0)
	v_max_f32_e32 v186, v186, v186
	v_add_co_u32 v205, vcc_lo, v148, s24
	v_add_co_ci_u32_e64 v206, null, 0, v149, vcc_lo
	v_max_f32_e32 v186, v13, v186
	v_add_co_u32 v211, vcc_lo, v146, s24
	v_add_co_ci_u32_e64 v212, null, 0, v147, vcc_lo
	v_sub_f32_e32 v195, v195, v186
	v_sub_f32_e32 v198, v10, v186
	v_add_co_u32 v10, vcc_lo, v144, s24
	v_add_co_ci_u32_e64 v11, null, 0, v145, vcc_lo
	v_mul_f32_e32 v13, 0x3fb8aa3b, v195
	v_add_co_u32 v12, vcc_lo, v142, s24
	v_mul_f32_e32 v202, 0x3fb8aa3b, v198
	global_load_dword v232, v[205:206], off
	v_fma_f32 v16, 0x3fb8aa3b, v195, -v13
	v_rndne_f32_e32 v200, v13
	global_load_ushort v233, v[187:188], off
	v_fma_f32 v207, 0x3fb8aa3b, v198, -v202
	v_rndne_f32_e32 v208, v202
	v_fmac_f32_e32 v16, 0x32a5705f, v195
	v_sub_f32_e32 v17, v13, v200
	v_add_co_ci_u32_e64 v13, null, 0, v143, vcc_lo
	v_cvt_i32_f32_e32 v200, v200
	v_fmac_f32_e32 v207, 0x32a5705f, v198
	v_add_f32_e32 v213, v17, v16
	v_add_co_u32 v16, vcc_lo, v140, s24
	v_add_co_ci_u32_e64 v17, null, 0, v141, vcc_lo
	v_exp_f32_e32 v217, v213
	v_add_co_u32 v213, vcc_lo, v138, s24
	v_add_co_ci_u32_e64 v214, null, 0, v139, vcc_lo
	v_add_co_u32 v215, vcc_lo, v136, s24
	v_add_co_ci_u32_e64 v216, null, 0, v137, vcc_lo
	v_cmp_ngt_f32_e32 vcc_lo, 0xc2ce8ed0, v195
	v_ldexp_f32 v200, v217, v200
	v_sub_f32_e32 v202, v202, v208
	v_cvt_i32_f32_e32 v205, v208
	v_cndmask_b32_e32 v200, 0, v200, vcc_lo
	v_add_co_u32 v217, vcc_lo, v134, s24
	v_add_co_ci_u32_e64 v218, null, 0, v135, vcc_lo
	v_cmp_nlt_f32_e32 vcc_lo, 0x42b17218, v195
	v_add_f32_e32 v202, v202, v207
	v_cndmask_b32_e32 v187, 0x7f800000, v200, vcc_lo
	v_exp_f32_e32 v202, v202
	v_add_co_u32 v219, vcc_lo, v132, s24
	v_add_co_ci_u32_e64 v220, null, 0, v133, vcc_lo
	v_cvt_f16_f32_e32 v195, v187
	v_cmp_ngt_f32_e32 vcc_lo, 0xc2ce8ed0, v198
	ds_write_b16 v39, v195
	v_ldexp_f32 v188, v202, v205
	ds_read_b128 v[205:208], v47
	global_load_ushort v209, v[209:210], off
	global_load_dword v210, v[10:11], off
	global_load_ushort v211, v[211:212], off
	global_load_dword v212, v[16:17], off
	;; [unrolled: 2-line block ×3, first 2 shown]
	global_load_ushort v195, v[213:214], off
	v_cndmask_b32_e32 v188, 0, v188, vcc_lo
	v_add_co_u32 v221, vcc_lo, v128, s24
	v_add_co_ci_u32_e64 v222, null, 0, v129, vcc_lo
	v_cmp_nlt_f32_e32 vcc_lo, 0x42b17218, v198
	global_load_dword v198, v[219:220], off
	global_load_ushort v16, v[217:218], off
	global_load_dword v17, v[221:222], off
	v_cndmask_b32_e32 v188, 0x7f800000, v188, vcc_lo
	v_add_co_u32 v223, vcc_lo, v124, s24
	v_add_co_ci_u32_e64 v224, null, 0, v125, vcc_lo
	v_cvt_f16_f32_e32 v10, v188
	s_waitcnt lgkmcnt(0)
	v_mul_u32_u24_sdwa v214, v206, v185 dst_sel:DWORD dst_unused:UNUSED_PAD src0_sel:WORD_0 src1_sel:DWORD
	v_mul_u32_u24_sdwa v206, v206, v185 dst_sel:DWORD dst_unused:UNUSED_PAD src0_sel:WORD_1 src1_sel:DWORD
	v_mul_u32_u24_sdwa v215, v207, v185 dst_sel:DWORD dst_unused:UNUSED_PAD src0_sel:WORD_0 src1_sel:DWORD
	v_mul_u32_u24_sdwa v207, v207, v185 dst_sel:DWORD dst_unused:UNUSED_PAD src0_sel:WORD_1 src1_sel:DWORD
	v_mul_u32_u24_sdwa v213, v10, v185 dst_sel:DWORD dst_unused:UNUSED_PAD src0_sel:WORD_0 src1_sel:DWORD
	v_mul_u32_u24_sdwa v216, v208, v185 dst_sel:DWORD dst_unused:UNUSED_PAD src0_sel:WORD_0 src1_sel:DWORD
	ds_read_b128 v[10:13], v47 offset:16
	v_fma_f32 v41, v41, v188, v187
	v_pk_mul_f16 v15, v15, v213
	v_pk_mul_f16 v14, v14, v213
	v_mul_u32_u24_sdwa v213, v205, v185 dst_sel:DWORD dst_unused:UNUSED_PAD src0_sel:WORD_0 src1_sel:DWORD
	v_mul_u32_u24_sdwa v205, v205, v185 dst_sel:DWORD dst_unused:UNUSED_PAD src0_sel:WORD_1 src1_sel:DWORD
	s_waitcnt vmcnt(30)
	v_ashrrev_i32_e32 v189, v184, v189
	s_waitcnt vmcnt(29)
	v_mul_u32_u24_e32 v190, 0x10001, v190
	s_waitcnt vmcnt(28)
	v_ashrrev_i32_e32 v191, v184, v191
	s_waitcnt vmcnt(27)
	v_mul_u32_u24_e32 v192, 0x10001, v192
	v_and_b32_e32 v189, 0xf0f0f0f, v189
	v_and_b32_e32 v191, 0xf0f0f0f, v191
	v_lshrrev_b32_e32 v222, 16, v189
	s_waitcnt vmcnt(26)
	v_ashrrev_i32_e32 v193, v184, v193
	v_and_b32_e32 v244, 0xf00, v222
	v_lshlrev_b16 v222, 8, v222
	v_and_b32_e32 v193, 0xf0f0f0f, v193
	v_add_nc_u16 v222, 0xf800, v222
	s_waitcnt vmcnt(25)
	v_mul_u32_u24_e32 v196, 0x10001, v196
	s_waitcnt vmcnt(24)
	v_ashrrev_i32_e32 v197, v184, v197
	v_or_b32_sdwa v222, v244, v222 dst_sel:DWORD dst_unused:UNUSED_PAD src0_sel:DWORD src1_sel:BYTE_1
	s_waitcnt vmcnt(22)
	v_ashrrev_i32_e32 v201, v184, v201
	v_mul_u32_u24_e32 v199, 0x10001, v199
	s_waitcnt vmcnt(21)
	v_mul_u32_u24_e32 v204, 0x10001, v204
	v_and_b32_e32 v197, 0xf0f0f0f, v197
	v_add_nc_u16 v222, 0xf800, v222
	v_and_b32_e32 v201, 0xf0f0f0f, v201
	v_lshrrev_b32_e32 v234, 16, v197
	v_and_b32_e32 v235, 0xf00, v197
	v_lshlrev_b16 v197, 8, v197
	v_lshrrev_b32_e32 v236, 16, v201
	v_and_b32_e32 v237, 0xf00, v201
	v_lshlrev_b16 v201, 8, v201
	v_and_b32_e32 v247, 0xf00, v234
	v_add_nc_u16 v197, 0xf800, v197
	v_lshlrev_b16 v234, 8, v234
	v_and_b32_e32 v248, 0xf00, v236
	s_waitcnt vmcnt(20)
	v_ashrrev_i32_e32 v217, v184, v225
	v_and_b32_e32 v225, 0xf00, v189
	v_lshlrev_b16 v189, 8, v189
	s_waitcnt vmcnt(19)
	v_mul_u32_u24_e32 v218, 0x10001, v226
	s_waitcnt vmcnt(18)
	v_ashrrev_i32_e32 v219, v184, v227
	v_lshrrev_b32_e32 v226, 16, v191
	v_and_b32_e32 v227, 0xf00, v191
	v_lshlrev_b16 v191, 8, v191
	v_add_nc_u16 v189, 0xf800, v189
	s_waitcnt vmcnt(17)
	v_mul_u32_u24_e32 v220, 0x10001, v228
	s_waitcnt vmcnt(16)
	v_ashrrev_i32_e32 v221, v184, v229
	v_lshrrev_b32_e32 v228, 16, v193
	v_and_b32_e32 v229, 0xf00, v193
	v_lshlrev_b16 v193, 8, v193
	v_and_b32_e32 v245, 0xf00, v226
	v_lshlrev_b16 v226, 8, v226
	v_add_nc_u16 v191, 0xf800, v191
	v_or_b32_sdwa v189, v225, v189 dst_sel:DWORD dst_unused:UNUSED_PAD src0_sel:DWORD src1_sel:BYTE_1
	v_and_b32_e32 v246, 0xf00, v228
	v_lshlrev_b16 v228, 8, v228
	v_add_nc_u16 v193, 0xf800, v193
	v_add_nc_u16 v225, 0xf800, v226
	v_or_b32_sdwa v191, v227, v191 dst_sel:DWORD dst_unused:UNUSED_PAD src0_sel:DWORD src1_sel:BYTE_1
	v_add_nc_u16 v189, 0xf800, v189
	v_and_b32_e32 v217, 0xf0f0f0f, v217
	v_lshlrev_b16 v236, 8, v236
	v_add_nc_u16 v226, 0xf800, v228
	v_or_b32_sdwa v193, v229, v193 dst_sel:DWORD dst_unused:UNUSED_PAD src0_sel:DWORD src1_sel:BYTE_1
	v_or_b32_sdwa v197, v235, v197 dst_sel:DWORD dst_unused:UNUSED_PAD src0_sel:DWORD src1_sel:BYTE_1
	;; [unrolled: 1-line block ×3, first 2 shown]
	v_add_nc_u16 v191, 0xf800, v191
	v_lshrrev_b32_e32 v235, 8, v189
	v_lshrrev_b32_e32 v238, 16, v217
	v_add_nc_u16 v201, 0xf800, v201
	v_add_nc_u16 v227, 0xf800, v234
	;; [unrolled: 1-line block ×3, first 2 shown]
	v_or_b32_sdwa v226, v246, v226 dst_sel:DWORD dst_unused:UNUSED_PAD src0_sel:DWORD src1_sel:BYTE_1
	v_add_nc_u16 v193, 0xf800, v193
	v_cvt_f16_i16_sdwa v189, sext(v189) dst_sel:DWORD dst_unused:UNUSED_PAD src0_sel:BYTE_0
	v_add_nc_u16 v225, 0xf800, v225
	v_lshrrev_b32_e32 v236, 8, v191
	v_cvt_f16_i16_sdwa v235, sext(v235) dst_sel:DWORD dst_unused:UNUSED_PAD src0_sel:BYTE_0
	v_lshrrev_b32_e32 v244, 8, v222
	v_and_b32_e32 v239, 0xf00, v217
	v_lshlrev_b16 v217, 8, v217
	v_and_b32_e32 v249, 0xf00, v238
	v_lshlrev_b16 v238, 8, v238
	v_or_b32_sdwa v201, v237, v201 dst_sel:DWORD dst_unused:UNUSED_PAD src0_sel:DWORD src1_sel:BYTE_1
	v_or_b32_sdwa v227, v247, v227 dst_sel:DWORD dst_unused:UNUSED_PAD src0_sel:DWORD src1_sel:BYTE_1
	v_add_nc_u16 v197, 0xf800, v197
	v_cvt_f16_i16_sdwa v191, sext(v191) dst_sel:DWORD dst_unused:UNUSED_PAD src0_sel:BYTE_0
	v_add_nc_u16 v226, 0xf800, v226
	v_lshrrev_b32_e32 v237, 8, v193
	v_cvt_f16_i16_sdwa v222, sext(v222) dst_sel:DWORD dst_unused:UNUSED_PAD src0_sel:BYTE_0
	v_cvt_f16_i16_sdwa v236, sext(v236) dst_sel:DWORD dst_unused:UNUSED_PAD src0_sel:BYTE_0
	v_lshrrev_b32_e32 v245, 8, v225
	v_pack_b32_f16 v189, v189, v235
	v_cvt_f16_i16_sdwa v235, sext(v244) dst_sel:DWORD dst_unused:UNUSED_PAD src0_sel:BYTE_0
	v_and_b32_e32 v219, 0xf0f0f0f, v219
	v_add_nc_u16 v217, 0xf800, v217
	v_add_nc_u16 v229, 0xf800, v238
	v_or_b32_sdwa v228, v248, v228 dst_sel:DWORD dst_unused:UNUSED_PAD src0_sel:DWORD src1_sel:BYTE_1
	v_add_nc_u16 v201, 0xf800, v201
	v_cvt_f16_i16_sdwa v193, sext(v193) dst_sel:DWORD dst_unused:UNUSED_PAD src0_sel:BYTE_0
	v_add_nc_u16 v227, 0xf800, v227
	v_lshrrev_b32_e32 v238, 8, v197
	v_cvt_f16_i16_sdwa v225, sext(v225) dst_sel:DWORD dst_unused:UNUSED_PAD src0_sel:BYTE_0
	v_cvt_f16_i16_sdwa v237, sext(v237) dst_sel:DWORD dst_unused:UNUSED_PAD src0_sel:BYTE_0
	v_lshrrev_b32_e32 v246, 8, v226
	v_pack_b32_f16 v191, v191, v236
	v_cvt_f16_i16_sdwa v236, sext(v245) dst_sel:DWORD dst_unused:UNUSED_PAD src0_sel:BYTE_0
	v_pack_b32_f16 v222, v222, v235
	v_lshrrev_b32_e32 v240, 16, v219
	v_and_b32_e32 v241, 0xf00, v219
	v_lshlrev_b16 v219, 8, v219
	v_or_b32_sdwa v217, v239, v217 dst_sel:DWORD dst_unused:UNUSED_PAD src0_sel:DWORD src1_sel:BYTE_1
	v_or_b32_sdwa v229, v249, v229 dst_sel:DWORD dst_unused:UNUSED_PAD src0_sel:DWORD src1_sel:BYTE_1
	v_cvt_f16_i16_sdwa v197, sext(v197) dst_sel:DWORD dst_unused:UNUSED_PAD src0_sel:BYTE_0
	v_add_nc_u16 v228, 0xf800, v228
	v_lshrrev_b32_e32 v239, 8, v201
	v_cvt_f16_i16_sdwa v226, sext(v226) dst_sel:DWORD dst_unused:UNUSED_PAD src0_sel:BYTE_0
	v_cvt_f16_i16_sdwa v238, sext(v238) dst_sel:DWORD dst_unused:UNUSED_PAD src0_sel:BYTE_0
	v_lshrrev_b32_e32 v247, 8, v227
	v_pack_b32_f16 v193, v193, v237
	v_cvt_f16_i16_sdwa v237, sext(v246) dst_sel:DWORD dst_unused:UNUSED_PAD src0_sel:BYTE_0
	v_pk_mul_f16 v189, v189, v190
	v_pack_b32_f16 v225, v225, v236
	v_pk_mul_f16 v190, v222, v190
	v_and_b32_e32 v250, 0xf00, v240
	v_lshlrev_b16 v240, 8, v240
	v_add_nc_u16 v219, 0xf800, v219
	v_add_nc_u16 v217, 0xf800, v217
	v_cvt_f16_i16_sdwa v201, sext(v201) dst_sel:DWORD dst_unused:UNUSED_PAD src0_sel:BYTE_0
	v_add_nc_u16 v229, 0xf800, v229
	v_cvt_f16_i16_sdwa v227, sext(v227) dst_sel:DWORD dst_unused:UNUSED_PAD src0_sel:BYTE_0
	v_cvt_f16_i16_sdwa v239, sext(v239) dst_sel:DWORD dst_unused:UNUSED_PAD src0_sel:BYTE_0
	v_lshrrev_b32_e32 v248, 8, v228
	v_pack_b32_f16 v197, v197, v238
	v_cvt_f16_i16_sdwa v238, sext(v247) dst_sel:DWORD dst_unused:UNUSED_PAD src0_sel:BYTE_0
	v_pk_mul_f16 v191, v191, v192
	v_pack_b32_f16 v222, v226, v237
	v_pk_fma_f16 v15, v189, v213, v15
	v_pk_mul_f16 v189, v225, v192
	v_pk_fma_f16 v14, v190, v213, v14
	v_and_b32_e32 v221, 0xf0f0f0f, v221
	v_add_nc_u16 v234, 0xf800, v240
	v_or_b32_sdwa v219, v241, v219 dst_sel:DWORD dst_unused:UNUSED_PAD src0_sel:DWORD src1_sel:BYTE_1
	v_lshrrev_b32_e32 v240, 8, v217
	v_cvt_f16_i16_sdwa v228, sext(v228) dst_sel:DWORD dst_unused:UNUSED_PAD src0_sel:BYTE_0
	v_lshrrev_b32_e32 v249, 8, v229
	v_pack_b32_f16 v201, v201, v239
	v_cvt_f16_i16_sdwa v239, sext(v248) dst_sel:DWORD dst_unused:UNUSED_PAD src0_sel:BYTE_0
	v_pk_mul_f16 v190, v193, v196
	v_pack_b32_f16 v192, v227, v238
	v_pk_mul_f16 v193, v222, v196
	v_pk_fma_f16 v15, v191, v205, v15
	v_pk_fma_f16 v14, v189, v205, v14
	v_lshrrev_b32_e32 v242, 16, v221
	v_add_nc_u16 v219, 0xf800, v219
	v_cvt_f16_i16_sdwa v217, sext(v217) dst_sel:DWORD dst_unused:UNUSED_PAD src0_sel:BYTE_0
	v_cvt_f16_i16_sdwa v240, sext(v240) dst_sel:DWORD dst_unused:UNUSED_PAD src0_sel:BYTE_0
	;; [unrolled: 1-line block ×4, first 2 shown]
	v_pk_mul_f16 v189, v197, v199
	v_pack_b32_f16 v191, v228, v239
	v_pk_mul_f16 v192, v192, v199
	v_pk_fma_f16 v15, v190, v214, v15
	v_pk_fma_f16 v14, v193, v214, v14
	v_and_b32_e32 v243, 0xf00, v221
	v_lshlrev_b16 v221, 8, v221
	v_and_b32_e32 v251, 0xf00, v242
	v_lshlrev_b16 v242, 8, v242
	v_lshrrev_b32_e32 v241, 8, v219
	v_pack_b32_f16 v217, v217, v240
	v_pk_mul_f16 v190, v201, v204
	v_pack_b32_f16 v193, v229, v235
	v_pk_mul_f16 v191, v191, v204
	v_pk_fma_f16 v15, v189, v206, v15
	v_pk_fma_f16 v14, v192, v206, v14
	v_add_nc_u16 v221, 0xf800, v221
	v_or_b32_sdwa v234, v250, v234 dst_sel:DWORD dst_unused:UNUSED_PAD src0_sel:DWORD src1_sel:BYTE_1
	v_cvt_f16_i16_sdwa v219, sext(v219) dst_sel:DWORD dst_unused:UNUSED_PAD src0_sel:BYTE_0
	v_cvt_f16_i16_sdwa v241, sext(v241) dst_sel:DWORD dst_unused:UNUSED_PAD src0_sel:BYTE_0
	v_pk_mul_f16 v192, v217, v218
	v_pk_mul_f16 v193, v193, v218
	v_pk_fma_f16 v15, v190, v215, v15
	v_pk_fma_f16 v14, v191, v215, v14
	v_add_nc_u16 v190, 0xf800, v242
	global_load_dword v201, v[223:224], off
	v_add_nc_u16 v234, 0xf800, v234
	v_pack_b32_f16 v219, v219, v241
	v_pk_fma_f16 v15, v192, v207, v15
	v_pk_fma_f16 v192, v193, v207, v14
	v_or_b32_sdwa v14, v251, v190 dst_sel:DWORD dst_unused:UNUSED_PAD src0_sel:DWORD src1_sel:BYTE_1
	v_or_b32_sdwa v190, v243, v221 dst_sel:DWORD dst_unused:UNUSED_PAD src0_sel:DWORD src1_sel:BYTE_1
	v_lshrrev_b32_e32 v250, 8, v234
	v_pk_mul_f16 v191, v219, v220
	v_cvt_f16_i16_sdwa v234, sext(v234) dst_sel:DWORD dst_unused:UNUSED_PAD src0_sel:BYTE_0
	v_add_nc_u16 v193, 0xf800, v14
	v_add_nc_u16 v190, 0xf800, v190
	v_add_co_u32 v14, vcc_lo, v130, s24
	v_cvt_f16_i16_sdwa v189, sext(v250) dst_sel:DWORD dst_unused:UNUSED_PAD src0_sel:BYTE_0
	v_pk_fma_f16 v191, v191, v216, v15
	v_add_co_ci_u32_e64 v15, null, 0, v131, vcc_lo
	s_waitcnt vmcnt(16)
	v_ashrrev_i32_e32 v194, v184, v194
	v_lshrrev_b32_e32 v197, 8, v190
	v_lshrrev_b32_e32 v199, 8, v193
	v_pack_b32_f16 v189, v234, v189
	v_cvt_f16_i16_sdwa v190, sext(v190) dst_sel:DWORD dst_unused:UNUSED_PAD src0_sel:BYTE_0
	global_load_ushort v196, v[14:15], off
	v_and_b32_e32 v14, 0xf0f0f0f, v194
	v_cvt_f16_i16_sdwa v15, sext(v197) dst_sel:DWORD dst_unused:UNUSED_PAD src0_sel:BYTE_0
	v_cvt_f16_i16_sdwa v193, sext(v193) dst_sel:DWORD dst_unused:UNUSED_PAD src0_sel:BYTE_0
	;; [unrolled: 1-line block ×3, first 2 shown]
	v_pk_mul_f16 v189, v189, v220
	s_waitcnt vmcnt(16)
	v_mul_u32_u24_e32 v197, 0x10001, v203
	v_pack_b32_f16 v15, v190, v15
	v_lshrrev_b32_e32 v199, 16, v14
	v_pack_b32_f16 v190, v193, v194
	v_lshlrev_b16 v194, 8, v14
	v_pk_fma_f16 v189, v189, v216, v192
	v_mul_u32_u24_sdwa v192, v208, v185 dst_sel:DWORD dst_unused:UNUSED_PAD src0_sel:WORD_1 src1_sel:DWORD
	v_pk_mul_f16 v15, v15, v197
	v_pk_mul_f16 v190, v190, v197
	v_and_b32_e32 v14, 0xf00, v14
	v_add_nc_u16 v194, 0xf800, v194
	v_lshlrev_b16 v193, 8, v199
	v_pk_fma_f16 v191, v15, v192, v191
	v_pk_fma_f16 v189, v190, v192, v189
	v_and_b32_e32 v197, 0xf00, v199
	v_or_b32_sdwa v192, v14, v194 dst_sel:DWORD dst_unused:UNUSED_PAD src0_sel:DWORD src1_sel:BYTE_1
	v_add_co_u32 v14, vcc_lo, v120, s24
	v_add_co_ci_u32_e64 v15, null, 0, v121, vcc_lo
	v_add_nc_u16 v193, 0xf800, v193
	v_add_nc_u16 v192, 0xf800, v192
	s_waitcnt vmcnt(15)
	v_mul_u32_u24_e32 v194, 0x10001, v230
	global_load_dword v199, v[14:15], off
	v_add_co_u32 v14, vcc_lo, v126, s24
	v_or_b32_sdwa v190, v197, v193 dst_sel:DWORD dst_unused:UNUSED_PAD src0_sel:DWORD src1_sel:BYTE_1
	v_lshrrev_b32_e32 v197, 8, v192
	v_add_co_ci_u32_e64 v15, null, 0, v127, vcc_lo
	s_waitcnt vmcnt(15)
	v_ashrrev_i32_e32 v193, v184, v231
	v_add_nc_u16 v190, 0xf800, v190
	v_cvt_f16_i16_sdwa v204, sext(v197) dst_sel:DWORD dst_unused:UNUSED_PAD src0_sel:BYTE_0
	global_load_ushort v197, v[14:15], off
	v_cvt_f16_i16_sdwa v192, sext(v192) dst_sel:DWORD dst_unused:UNUSED_PAD src0_sel:BYTE_0
	v_and_b32_e32 v193, 0xf0f0f0f, v193
	v_lshrrev_b32_e32 v203, 8, v190
	v_cvt_f16_i16_sdwa v14, sext(v190) dst_sel:DWORD dst_unused:UNUSED_PAD src0_sel:BYTE_0
	s_waitcnt vmcnt(9)
	v_mul_u32_u24_e32 v200, 0x10001, v200
	v_pack_b32_f16 v192, v192, v204
	v_lshlrev_b16 v205, 8, v193
	v_cvt_f16_i16_sdwa v15, sext(v203) dst_sel:DWORD dst_unused:UNUSED_PAD src0_sel:BYTE_0
	v_lshrrev_b32_e32 v190, 16, v193
	v_and_b32_e32 v193, 0xf00, v193
	v_pk_mul_f16 v192, v192, v194
	v_add_nc_u16 v203, 0xf800, v205
	v_pack_b32_f16 v14, v14, v15
	v_lshlrev_b16 v204, 8, v190
	s_waitcnt lgkmcnt(0)
	v_mul_u32_u24_sdwa v15, v10, v185 dst_sel:DWORD dst_unused:UNUSED_PAD src0_sel:WORD_0 src1_sel:DWORD
	v_and_b32_e32 v190, 0xf00, v190
	v_or_b32_sdwa v193, v193, v203 dst_sel:DWORD dst_unused:UNUSED_PAD src0_sel:DWORD src1_sel:BYTE_1
	v_pk_mul_f16 v14, v14, v194
	v_add_nc_u16 v194, 0xf800, v204
	v_pk_fma_f16 v191, v192, v15, v191
	v_mul_u32_u24_e32 v203, 0x10001, v233
	v_add_nc_u16 v193, 0xf800, v193
	v_pk_fma_f16 v189, v14, v15, v189
	v_add_co_u32 v14, vcc_lo, v116, s24
	v_or_b32_sdwa v190, v190, v194 dst_sel:DWORD dst_unused:UNUSED_PAD src0_sel:DWORD src1_sel:BYTE_1
	v_lshrrev_b32_e32 v192, 8, v193
	v_cvt_f16_i16_sdwa v194, sext(v193) dst_sel:DWORD dst_unused:UNUSED_PAD src0_sel:BYTE_0
	v_ashrrev_i32_e32 v193, v184, v232
	v_add_co_ci_u32_e64 v15, null, 0, v117, vcc_lo
	v_cvt_f16_i16_sdwa v192, sext(v192) dst_sel:DWORD dst_unused:UNUSED_PAD src0_sel:BYTE_0
	v_add_nc_u16 v190, 0xf800, v190
	v_and_b32_e32 v204, 0xf0f0f0f, v193
	global_load_dword v193, v[14:15], off
	v_add_co_u32 v14, vcc_lo, v122, s24
	v_pack_b32_f16 v192, v194, v192
	v_lshrrev_b32_e32 v194, 8, v190
	v_cvt_f16_i16_sdwa v205, sext(v190) dst_sel:DWORD dst_unused:UNUSED_PAD src0_sel:BYTE_0
	v_lshlrev_b16 v190, 8, v204
	v_add_co_ci_u32_e64 v15, null, 0, v123, vcc_lo
	v_lshrrev_b32_e32 v206, 16, v204
	v_cvt_f16_i16_sdwa v194, sext(v194) dst_sel:DWORD dst_unused:UNUSED_PAD src0_sel:BYTE_0
	v_and_b32_e32 v204, 0xf00, v204
	v_add_nc_u16 v207, 0xf800, v190
	global_load_ushort v190, v[14:15], off
	v_lshlrev_b16 v14, 8, v206
	v_mul_u32_u24_sdwa v10, v10, v185 dst_sel:DWORD dst_unused:UNUSED_PAD src0_sel:WORD_1 src1_sel:DWORD
	v_pack_b32_f16 v15, v205, v194
	v_pk_mul_f16 v192, v192, v203
	v_or_b32_sdwa v194, v204, v207 dst_sel:DWORD dst_unused:UNUSED_PAD src0_sel:DWORD src1_sel:BYTE_1
	v_and_b32_e32 v204, 0xf00, v206
	v_add_nc_u16 v14, 0xf800, v14
	v_pk_mul_f16 v15, v15, v203
	v_pk_fma_f16 v191, v192, v10, v191
	v_add_nc_u16 v192, 0xf800, v194
	v_ashrrev_i32_e32 v194, v184, v210
	v_or_b32_sdwa v14, v204, v14 dst_sel:DWORD dst_unused:UNUSED_PAD src0_sel:DWORD src1_sel:BYTE_1
	v_pk_fma_f16 v205, v15, v10, v189
	v_mul_u32_u24_sdwa v206, v11, v185 dst_sel:DWORD dst_unused:UNUSED_PAD src0_sel:WORD_0 src1_sel:DWORD
	v_lshrrev_b32_e32 v10, 8, v192
	v_and_b32_e32 v15, 0xf0f0f0f, v194
	v_add_nc_u16 v14, 0xf800, v14
	v_cvt_f16_i16_sdwa v192, sext(v192) dst_sel:DWORD dst_unused:UNUSED_PAD src0_sel:BYTE_0
	v_mul_u32_u24_e32 v194, 0x10001, v209
	v_cvt_f16_i16_sdwa v10, sext(v10) dst_sel:DWORD dst_unused:UNUSED_PAD src0_sel:BYTE_0
	v_lshlrev_b16 v189, 8, v15
	v_lshrrev_b32_e32 v203, 8, v14
	v_cvt_f16_i16_sdwa v204, sext(v14) dst_sel:DWORD dst_unused:UNUSED_PAD src0_sel:BYTE_0
	v_add_co_u32 v14, vcc_lo, v112, s24
	v_lshrrev_b32_e32 v207, 16, v15
	v_and_b32_e32 v208, 0xf00, v15
	v_add_nc_u16 v189, 0xf800, v189
	v_add_co_ci_u32_e64 v15, null, 0, v113, vcc_lo
	v_pack_b32_f16 v192, v192, v10
	v_and_b32_e32 v209, 0xf00, v207
	v_or_b32_sdwa v208, v208, v189 dst_sel:DWORD dst_unused:UNUSED_PAD src0_sel:DWORD src1_sel:BYTE_1
	global_load_dword v189, v[14:15], off
	v_add_co_u32 v14, vcc_lo, v118, s24
	v_add_co_ci_u32_e64 v15, null, 0, v119, vcc_lo
	v_lshlrev_b16 v207, 8, v207
	v_cvt_f16_i16_sdwa v203, sext(v203) dst_sel:DWORD dst_unused:UNUSED_PAD src0_sel:BYTE_0
	v_add_nc_u16 v208, 0xf800, v208
	global_load_ushort v10, v[14:15], off
	v_pk_mul_f16 v192, v192, v194
	v_add_nc_u16 v207, 0xf800, v207
	v_pack_b32_f16 v203, v204, v203
	v_lshrrev_b32_e32 v14, 8, v208
	v_mul_u32_u24_sdwa v11, v11, v185 dst_sel:DWORD dst_unused:UNUSED_PAD src0_sel:WORD_1 src1_sel:DWORD
	s_waitcnt vmcnt(12)
	v_ashrrev_i32_e32 v202, v184, v202
	v_or_b32_sdwa v15, v209, v207 dst_sel:DWORD dst_unused:UNUSED_PAD src0_sel:DWORD src1_sel:BYTE_1
	v_pk_mul_f16 v194, v203, v194
	v_cvt_f16_i16_sdwa v203, sext(v208) dst_sel:DWORD dst_unused:UNUSED_PAD src0_sel:BYTE_0
	v_cvt_f16_i16_sdwa v14, sext(v14) dst_sel:DWORD dst_unused:UNUSED_PAD src0_sel:BYTE_0
	v_pk_fma_f16 v208, v192, v206, v191
	v_add_nc_u16 v207, 0xf800, v15
	v_ashrrev_i32_e32 v15, v184, v212
	v_mul_u32_u24_e32 v209, 0x10001, v211
	v_pack_b32_f16 v210, v203, v14
	v_add_co_u32 v14, vcc_lo, v108, s24
	v_and_b32_e32 v191, 0xf0f0f0f, v15
	v_add_co_ci_u32_e64 v15, null, 0, v109, vcc_lo
	v_add_co_u32 v203, vcc_lo, v114, s24
	v_lshlrev_b16 v212, 8, v191
	v_lshrrev_b32_e32 v211, 8, v207
	v_add_co_ci_u32_e64 v204, null, 0, v115, vcc_lo
	v_lshrrev_b32_e32 v213, 16, v191
	global_load_dword v192, v[14:15], off
	v_and_b32_e32 v14, 0xf00, v191
	v_add_nc_u16 v15, 0xf800, v212
	global_load_ushort v191, v[203:204], off
	v_cvt_f16_i16_sdwa v203, sext(v207) dst_sel:DWORD dst_unused:UNUSED_PAD src0_sel:BYTE_0
	v_cvt_f16_i16_sdwa v204, sext(v211) dst_sel:DWORD dst_unused:UNUSED_PAD src0_sel:BYTE_0
	v_lshlrev_b16 v207, 8, v213
	v_or_b32_sdwa v14, v14, v15 dst_sel:DWORD dst_unused:UNUSED_PAD src0_sel:DWORD src1_sel:BYTE_1
	v_pk_mul_f16 v15, v210, v209
	v_pk_fma_f16 v205, v194, v206, v205
	v_pack_b32_f16 v203, v203, v204
	v_and_b32_e32 v204, 0xf00, v213
	v_add_nc_u16 v207, 0xf800, v207
	v_add_nc_u16 v210, 0xf800, v14
	v_add_co_u32 v14, vcc_lo, v104, s24
	v_pk_fma_f16 v206, v15, v11, v208
	v_or_b32_sdwa v194, v204, v207 dst_sel:DWORD dst_unused:UNUSED_PAD src0_sel:DWORD src1_sel:BYTE_1
	v_add_co_ci_u32_e64 v15, null, 0, v105, vcc_lo
	v_lshrrev_b32_e32 v204, 8, v210
	v_cvt_f16_i16_sdwa v207, sext(v210) dst_sel:DWORD dst_unused:UNUSED_PAD src0_sel:BYTE_0
	v_add_nc_u16 v208, 0xf800, v194
	global_load_dword v194, v[14:15], off
	v_pk_mul_f16 v203, v203, v209
	v_cvt_f16_i16_sdwa v204, sext(v204) dst_sel:DWORD dst_unused:UNUSED_PAD src0_sel:BYTE_0
	v_and_b32_e32 v202, 0xf0f0f0f, v202
	s_waitcnt vmcnt(12)
	v_mul_u32_u24_e32 v16, 0x10001, v16
	v_pk_fma_f16 v203, v203, v11, v205
	v_pack_b32_f16 v14, v207, v204
	v_lshrrev_b32_e32 v11, 8, v208
	v_cvt_f16_i16_sdwa v207, sext(v208) dst_sel:DWORD dst_unused:UNUSED_PAD src0_sel:BYTE_0
	v_lshlrev_b16 v208, 8, v202
	v_lshrrev_b32_e32 v209, 16, v202
	v_pk_mul_f16 v205, v14, v200
	v_add_co_u32 v14, vcc_lo, v110, s24
	v_cvt_f16_i16_sdwa v11, sext(v11) dst_sel:DWORD dst_unused:UNUSED_PAD src0_sel:BYTE_0
	v_add_co_ci_u32_e64 v15, null, 0, v111, vcc_lo
	v_and_b32_e32 v202, 0xf00, v202
	v_add_nc_u16 v208, 0xf800, v208
	v_pack_b32_f16 v207, v207, v11
	global_load_ushort v11, v[14:15], off
	v_add_co_u32 v14, vcc_lo, v100, s24
	v_add_co_ci_u32_e64 v15, null, 0, v101, vcc_lo
	v_pk_mul_f16 v207, v207, v200
	v_lshlrev_b16 v210, 8, v209
	v_or_b32_sdwa v202, v202, v208 dst_sel:DWORD dst_unused:UNUSED_PAD src0_sel:DWORD src1_sel:BYTE_1
	global_load_dword v200, v[14:15], off
	v_add_co_u32 v14, vcc_lo, v106, s24
	v_mul_u32_u24_sdwa v204, v12, v185 dst_sel:DWORD dst_unused:UNUSED_PAD src0_sel:WORD_0 src1_sel:DWORD
	v_and_b32_e32 v208, 0xf00, v209
	v_add_nc_u16 v209, 0xf800, v210
	v_add_nc_u16 v202, 0xf800, v202
	v_add_co_ci_u32_e64 v15, null, 0, v107, vcc_lo
	v_pk_fma_f16 v205, v205, v204, v206
	v_or_b32_sdwa v208, v208, v209 dst_sel:DWORD dst_unused:UNUSED_PAD src0_sel:DWORD src1_sel:BYTE_1
	v_mul_u32_u24_sdwa v206, v12, v185 dst_sel:DWORD dst_unused:UNUSED_PAD src0_sel:WORD_1 src1_sel:DWORD
	v_lshrrev_b32_e32 v209, 8, v202
	global_load_ushort v12, v[14:15], off
	v_ashrrev_i32_e32 v14, v184, v198
	v_mul_u32_u24_e32 v210, 0x10001, v195
	v_cvt_f16_i16_sdwa v195, sext(v202) dst_sel:DWORD dst_unused:UNUSED_PAD src0_sel:BYTE_0
	v_cvt_f16_i16_sdwa v198, sext(v209) dst_sel:DWORD dst_unused:UNUSED_PAD src0_sel:BYTE_0
	v_add_nc_u16 v208, 0xf800, v208
	v_and_b32_e32 v209, 0xf0f0f0f, v14
	v_add_co_u32 v14, vcc_lo, v96, s24
	v_add_co_ci_u32_e64 v15, null, 0, v97, vcc_lo
	v_pack_b32_f16 v195, v195, v198
	v_lshrrev_b32_e32 v202, 8, v208
	v_lshlrev_b16 v211, 8, v209
	global_load_dword v198, v[14:15], off
	v_add_co_u32 v14, vcc_lo, v102, s24
	v_and_b32_e32 v212, 0xf00, v209
	v_add_co_ci_u32_e64 v15, null, 0, v103, vcc_lo
	v_lshrrev_b32_e32 v209, 16, v209
	v_cvt_f16_i16_sdwa v208, sext(v208) dst_sel:DWORD dst_unused:UNUSED_PAD src0_sel:BYTE_0
	v_cvt_f16_i16_sdwa v202, sext(v202) dst_sel:DWORD dst_unused:UNUSED_PAD src0_sel:BYTE_0
	v_add_nc_u16 v211, 0xf800, v211
	v_pk_mul_f16 v213, v195, v210
	global_load_ushort v195, v[14:15], off
	v_lshlrev_b16 v14, 8, v209
	v_pack_b32_f16 v202, v208, v202
	v_or_b32_sdwa v211, v212, v211 dst_sel:DWORD dst_unused:UNUSED_PAD src0_sel:DWORD src1_sel:BYTE_1
	v_pk_fma_f16 v203, v207, v204, v203
	v_pk_fma_f16 v208, v213, v206, v205
	v_add_nc_u16 v207, 0xf800, v14
	v_add_co_u32 v14, vcc_lo, v92, s24
	v_pk_mul_f16 v202, v202, v210
	v_add_co_ci_u32_e64 v15, null, 0, v93, vcc_lo
	v_add_nc_u16 v204, 0xf800, v211
	v_and_b32_e32 v205, 0xf00, v209
	v_pk_fma_f16 v210, v202, v206, v203
	global_load_dword v203, v[14:15], off
	s_waitcnt vmcnt(17)
	v_ashrrev_i32_e32 v14, v184, v17
	v_lshrrev_b32_e32 v209, 8, v204
	v_or_b32_sdwa v205, v205, v207 dst_sel:DWORD dst_unused:UNUSED_PAD src0_sel:DWORD src1_sel:BYTE_1
	v_cvt_f16_i16_sdwa v202, sext(v204) dst_sel:DWORD dst_unused:UNUSED_PAD src0_sel:BYTE_0
	v_cvt_f16_i16_sdwa v204, sext(v209) dst_sel:DWORD dst_unused:UNUSED_PAD src0_sel:BYTE_0
	v_add_nc_u16 v205, 0xf800, v205
	v_mul_u32_u24_sdwa v209, v13, v185 dst_sel:DWORD dst_unused:UNUSED_PAD src0_sel:WORD_0 src1_sel:DWORD
	v_mul_u32_u24_sdwa v13, v13, v185 dst_sel:DWORD dst_unused:UNUSED_PAD src0_sel:WORD_1 src1_sel:DWORD
	v_pack_b32_f16 v17, v202, v204
	v_and_b32_e32 v204, 0xf0f0f0f, v14
	v_add_co_u32 v14, vcc_lo, v98, s24
	v_lshrrev_b32_e32 v202, 8, v205
	v_add_co_ci_u32_e64 v15, null, 0, v99, vcc_lo
	v_cvt_f16_i16_sdwa v205, sext(v205) dst_sel:DWORD dst_unused:UNUSED_PAD src0_sel:BYTE_0
	v_lshlrev_b16 v206, 8, v204
	v_cvt_f16_i16_sdwa v207, sext(v202) dst_sel:DWORD dst_unused:UNUSED_PAD src0_sel:BYTE_0
	global_load_ushort v202, v[14:15], off
	v_add_co_u32 v14, vcc_lo, v88, s24
	v_add_co_ci_u32_e64 v15, null, 0, v89, vcc_lo
	v_lshrrev_b32_e32 v211, 16, v204
	v_and_b32_e32 v204, 0xf00, v204
	v_add_nc_u16 v206, 0xf800, v206
	global_load_dword v213, v[14:15], off
	v_pk_mul_f16 v212, v17, v16
	v_pack_b32_f16 v17, v205, v207
	v_lshlrev_b16 v205, 8, v211
	v_or_b32_sdwa v204, v204, v206 dst_sel:DWORD dst_unused:UNUSED_PAD src0_sel:DWORD src1_sel:BYTE_1
	v_add_co_u32 v14, vcc_lo, v94, s24
	v_pk_mul_f16 v214, v17, v16
	v_and_b32_e32 v211, 0xf00, v211
	v_add_nc_u16 v215, 0xf800, v205
	v_add_co_ci_u32_e64 v15, null, 0, v95, vcc_lo
	v_pk_fma_f16 v212, v212, v209, v208
	v_add_co_u32 v208, vcc_lo, v84, s24
	v_add_nc_u16 v216, 0xf800, v204
	v_pk_fma_f16 v210, v214, v209, v210
	v_add_co_ci_u32_e64 v209, null, 0, v85, vcc_lo
	v_or_b32_sdwa v211, v211, v215 dst_sel:DWORD dst_unused:UNUSED_PAD src0_sel:DWORD src1_sel:BYTE_1
	s_waitcnt vmcnt(18)
	v_ashrrev_i32_e32 v201, v184, v201
	global_load_ushort v217, v[14:15], off
	ds_read_b128 v[204:207], v47 offset:32
	ds_read_b128 v[14:17], v47 offset:48
	v_lshrrev_b32_e32 v214, 8, v216
	v_cvt_f16_i16_sdwa v215, sext(v216) dst_sel:DWORD dst_unused:UNUSED_PAD src0_sel:BYTE_0
	global_load_dword v216, v[208:209], off
	v_add_nc_u16 v211, 0xf800, v211
	v_and_b32_e32 v201, 0xf0f0f0f, v201
	v_cvt_f16_i16_sdwa v214, sext(v214) dst_sel:DWORD dst_unused:UNUSED_PAD src0_sel:BYTE_0
	s_waitcnt vmcnt(19)
	v_mul_u32_u24_e32 v196, 0x10001, v196
	v_lshrrev_b32_e32 v208, 8, v211
	v_lshlrev_b16 v209, 8, v201
	v_pack_b32_f16 v214, v215, v214
	v_lshrrev_b32_e32 v218, 16, v201
	v_and_b32_e32 v201, 0xf00, v201
	v_cvt_f16_i16_sdwa v215, sext(v208) dst_sel:DWORD dst_unused:UNUSED_PAD src0_sel:BYTE_0
	v_add_co_u32 v208, vcc_lo, v90, s24
	v_add_nc_u16 v219, 0xf800, v209
	v_add_co_ci_u32_e64 v209, null, 0, v91, vcc_lo
	v_cvt_f16_i16_sdwa v211, sext(v211) dst_sel:DWORD dst_unused:UNUSED_PAD src0_sel:BYTE_0
	v_pk_mul_f16 v214, v214, v196
	v_or_b32_sdwa v201, v201, v219 dst_sel:DWORD dst_unused:UNUSED_PAD src0_sel:DWORD src1_sel:BYTE_1
	global_load_ushort v219, v[208:209], off
	v_add_co_u32 v208, vcc_lo, v80, s24
	v_pack_b32_f16 v211, v211, v215
	v_add_co_ci_u32_e64 v209, null, 0, v81, vcc_lo
	v_lshlrev_b16 v215, 8, v218
	v_add_nc_u16 v201, 0xf800, v201
	v_pk_mul_f16 v196, v211, v196
	v_and_b32_e32 v211, 0xf00, v218
	global_load_dword v218, v[208:209], off
	v_add_nc_u16 v215, 0xf800, v215
	v_add_co_u32 v208, vcc_lo, v86, s24
	v_add_co_ci_u32_e64 v209, null, 0, v87, vcc_lo
	v_pk_fma_f16 v212, v214, v13, v212
	v_or_b32_sdwa v211, v211, v215 dst_sel:DWORD dst_unused:UNUSED_PAD src0_sel:DWORD src1_sel:BYTE_1
	s_waitcnt vmcnt(20)
	v_ashrrev_i32_e32 v199, v184, v199
	v_lshrrev_b32_e32 v214, 8, v201
	global_load_ushort v215, v[208:209], off
	v_pk_fma_f16 v13, v196, v13, v210
	v_add_nc_u16 v196, 0xf800, v211
	v_and_b32_e32 v199, 0xf0f0f0f, v199
	v_cvt_f16_i16_sdwa v201, sext(v201) dst_sel:DWORD dst_unused:UNUSED_PAD src0_sel:BYTE_0
	v_cvt_f16_i16_sdwa v208, sext(v214) dst_sel:DWORD dst_unused:UNUSED_PAD src0_sel:BYTE_0
	s_waitcnt vmcnt(20)
	v_mul_u32_u24_e32 v214, 0x10001, v197
	v_lshrrev_b32_e32 v210, 8, v196
	v_lshrrev_b32_e32 v211, 16, v199
	v_lshlrev_b16 v221, 8, v199
	v_pack_b32_f16 v201, v201, v208
	v_cvt_f16_i16_sdwa v208, sext(v196) dst_sel:DWORD dst_unused:UNUSED_PAD src0_sel:BYTE_0
	v_add_co_u32 v196, vcc_lo, v76, s24
	v_add_co_ci_u32_e64 v197, null, 0, v77, vcc_lo
	v_lshlrev_b16 v220, 8, v211
	v_cvt_f16_i16_sdwa v210, sext(v210) dst_sel:DWORD dst_unused:UNUSED_PAD src0_sel:BYTE_0
	v_and_b32_e32 v211, 0xf00, v211
	global_load_dword v222, v[196:197], off
	v_add_co_u32 v196, vcc_lo, v82, s24
	v_add_nc_u16 v220, 0xf800, v220
	v_add_co_ci_u32_e64 v197, null, 0, v83, vcc_lo
	v_pack_b32_f16 v208, v208, v210
	v_and_b32_e32 v199, 0xf00, v199
	v_or_b32_sdwa v210, v211, v220 dst_sel:DWORD dst_unused:UNUSED_PAD src0_sel:DWORD src1_sel:BYTE_1
	global_load_ushort v211, v[196:197], off
	v_add_co_u32 v196, vcc_lo, v72, s24
	v_add_co_ci_u32_e64 v197, null, 0, v73, vcc_lo
	v_add_nc_u16 v221, 0xf800, v221
	v_pk_mul_f16 v201, v201, v214
	v_pk_mul_f16 v208, v208, v214
	global_load_dword v214, v[196:197], off
	v_add_nc_u16 v210, 0xf800, v210
	v_or_b32_sdwa v199, v199, v221 dst_sel:DWORD dst_unused:UNUSED_PAD src0_sel:DWORD src1_sel:BYTE_1
	s_waitcnt lgkmcnt(1)
	v_mul_u32_u24_sdwa v209, v204, v185 dst_sel:DWORD dst_unused:UNUSED_PAD src0_sel:WORD_0 src1_sel:DWORD
	s_waitcnt vmcnt(22)
	v_ashrrev_i32_e32 v193, v184, v193
	v_mul_u32_u24_sdwa v204, v204, v185 dst_sel:DWORD dst_unused:UNUSED_PAD src0_sel:WORD_1 src1_sel:DWORD
	v_lshrrev_b32_e32 v197, 8, v210
	v_add_nc_u16 v199, 0xf800, v199
	v_pk_fma_f16 v13, v208, v209, v13
	v_and_b32_e32 v193, 0xf0f0f0f, v193
	v_cvt_f16_i16_sdwa v208, sext(v210) dst_sel:DWORD dst_unused:UNUSED_PAD src0_sel:BYTE_0
	v_cvt_f16_i16_sdwa v197, sext(v197) dst_sel:DWORD dst_unused:UNUSED_PAD src0_sel:BYTE_0
	v_lshrrev_b32_e32 v196, 8, v199
	v_cvt_f16_i16_sdwa v199, sext(v199) dst_sel:DWORD dst_unused:UNUSED_PAD src0_sel:BYTE_0
	v_pk_fma_f16 v201, v201, v209, v212
	v_lshrrev_b32_e32 v209, 16, v193
	v_pack_b32_f16 v208, v208, v197
	v_cvt_f16_i16_sdwa v196, sext(v196) dst_sel:DWORD dst_unused:UNUSED_PAD src0_sel:BYTE_0
	s_waitcnt vmcnt(21)
	v_mul_u32_u24_e32 v190, 0x10001, v190
	v_lshlrev_b16 v212, 8, v193
	v_and_b32_e32 v210, 0xf00, v209
	v_lshlrev_b16 v209, 8, v209
	v_pack_b32_f16 v199, v199, v196
	v_add_co_u32 v196, vcc_lo, v78, s24
	v_add_co_ci_u32_e64 v197, null, 0, v79, vcc_lo
	v_add_nc_u16 v209, 0xf800, v209
	v_pk_mul_f16 v199, v199, v190
	v_pk_mul_f16 v190, v208, v190
	global_load_ushort v220, v[196:197], off
	v_add_co_u32 v196, vcc_lo, v68, s24
	v_add_co_ci_u32_e64 v197, null, 0, v69, vcc_lo
	v_add_co_u32 v208, vcc_lo, v74, s24
	v_or_b32_sdwa v210, v210, v209 dst_sel:DWORD dst_unused:UNUSED_PAD src0_sel:DWORD src1_sel:BYTE_1
	v_add_co_ci_u32_e64 v209, null, 0, v75, vcc_lo
	v_pk_fma_f16 v199, v199, v204, v201
	global_load_dword v201, v[196:197], off
	v_add_co_u32 v196, vcc_lo, v64, s24
	global_load_ushort v208, v[208:209], off
	v_add_co_ci_u32_e64 v197, null, 0, v65, vcc_lo
	v_and_b32_e32 v193, 0xf00, v193
	v_add_nc_u16 v212, 0xf800, v212
	v_add_nc_u16 v210, 0xf800, v210
	global_load_dword v196, v[196:197], off
	s_waitcnt vmcnt(24)
	v_ashrrev_i32_e32 v189, v184, v189
	v_pk_fma_f16 v13, v190, v204, v13
	v_or_b32_sdwa v193, v193, v212 dst_sel:DWORD dst_unused:UNUSED_PAD src0_sel:DWORD src1_sel:BYTE_1
	v_lshrrev_b32_e32 v212, 8, v210
	v_and_b32_e32 v189, 0xf0f0f0f, v189
	s_waitcnt vmcnt(23)
	v_mul_u32_u24_e32 v10, 0x10001, v10
	v_add_nc_u16 v193, 0xf800, v193
	v_lshrrev_b32_e32 v209, 8, v193
	v_cvt_f16_i16_sdwa v193, sext(v193) dst_sel:DWORD dst_unused:UNUSED_PAD src0_sel:BYTE_0
	v_cvt_f16_i16_sdwa v197, sext(v209) dst_sel:DWORD dst_unused:UNUSED_PAD src0_sel:BYTE_0
	;; [unrolled: 1-line block ×4, first 2 shown]
	v_lshrrev_b32_e32 v212, 16, v189
	v_pack_b32_f16 v193, v193, v197
	v_mul_u32_u24_sdwa v197, v205, v185 dst_sel:DWORD dst_unused:UNUSED_PAD src0_sel:WORD_0 src1_sel:DWORD
	v_pack_b32_f16 v190, v209, v210
	v_lshlrev_b16 v209, 8, v189
	v_lshlrev_b16 v204, 8, v212
	v_pk_mul_f16 v193, v193, v10
	v_and_b32_e32 v189, 0xf00, v189
	v_pk_mul_f16 v10, v190, v10
	v_add_nc_u16 v209, 0xf800, v209
	v_and_b32_e32 v190, 0xf00, v212
	v_add_nc_u16 v204, 0xf800, v204
	v_pk_fma_f16 v193, v193, v197, v199
	v_pk_fma_f16 v10, v10, v197, v13
	v_or_b32_sdwa v199, v189, v209 dst_sel:DWORD dst_unused:UNUSED_PAD src0_sel:DWORD src1_sel:BYTE_1
	v_add_co_u32 v189, vcc_lo, v70, s24
	v_or_b32_sdwa v197, v190, v204 dst_sel:DWORD dst_unused:UNUSED_PAD src0_sel:DWORD src1_sel:BYTE_1
	v_add_co_ci_u32_e64 v190, null, 0, v71, vcc_lo
	s_waitcnt vmcnt(22)
	v_ashrrev_i32_e32 v192, v184, v192
	v_add_nc_u16 v199, 0xf800, v199
	v_add_nc_u16 v197, 0xf800, v197
	global_load_ushort v204, v[189:190], off
	v_add_co_u32 v189, vcc_lo, v66, s24
	v_add_co_ci_u32_e64 v190, null, 0, v67, vcc_lo
	v_and_b32_e32 v192, 0xf0f0f0f, v192
	v_mul_u32_u24_sdwa v13, v205, v185 dst_sel:DWORD dst_unused:UNUSED_PAD src0_sel:WORD_1 src1_sel:DWORD
	v_lshrrev_b32_e32 v205, 8, v199
	global_load_ushort v189, v[189:190], off
	v_lshrrev_b32_e32 v209, 8, v197
	v_lshlrev_b16 v210, 8, v192
	v_lshrrev_b32_e32 v190, 16, v192
	v_cvt_f16_i16_sdwa v199, sext(v199) dst_sel:DWORD dst_unused:UNUSED_PAD src0_sel:BYTE_0
	v_cvt_f16_i16_sdwa v205, sext(v205) dst_sel:DWORD dst_unused:UNUSED_PAD src0_sel:BYTE_0
	v_cvt_f16_i16_sdwa v197, sext(v197) dst_sel:DWORD dst_unused:UNUSED_PAD src0_sel:BYTE_0
	v_cvt_f16_i16_sdwa v209, sext(v209) dst_sel:DWORD dst_unused:UNUSED_PAD src0_sel:BYTE_0
	v_and_b32_e32 v192, 0xf00, v192
	v_add_nc_u16 v210, 0xf800, v210
	v_lshlrev_b16 v212, 8, v190
	s_waitcnt vmcnt(23)
	v_mul_u32_u24_e32 v191, 0x10001, v191
	v_pack_b32_f16 v199, v199, v205
	v_pack_b32_f16 v197, v197, v209
	v_and_b32_e32 v190, 0xf00, v190
	v_or_b32_sdwa v192, v192, v210 dst_sel:DWORD dst_unused:UNUSED_PAD src0_sel:DWORD src1_sel:BYTE_1
	v_add_nc_u16 v205, 0xf800, v212
	s_waitcnt vmcnt(22)
	v_ashrrev_i32_e32 v194, v184, v194
	v_pk_mul_f16 v199, v199, v191
	v_pk_mul_f16 v191, v197, v191
	v_add_nc_u16 v192, 0xf800, v192
	v_or_b32_sdwa v190, v190, v205 dst_sel:DWORD dst_unused:UNUSED_PAD src0_sel:DWORD src1_sel:BYTE_1
	v_and_b32_e32 v194, 0xf0f0f0f, v194
	v_pk_fma_f16 v193, v199, v13, v193
	v_pk_fma_f16 v10, v191, v13, v10
	v_lshrrev_b32_e32 v13, 8, v192
	v_add_nc_u16 v190, 0xf800, v190
	v_lshlrev_b16 v197, 8, v194
	v_cvt_f16_i16_sdwa v192, sext(v192) dst_sel:DWORD dst_unused:UNUSED_PAD src0_sel:BYTE_0
	v_and_b32_e32 v205, 0xf00, v194
	v_cvt_f16_i16_sdwa v13, sext(v13) dst_sel:DWORD dst_unused:UNUSED_PAD src0_sel:BYTE_0
	v_lshrrev_b32_e32 v199, 8, v190
	v_add_nc_u16 v197, 0xf800, v197
	v_lshrrev_b32_e32 v194, 16, v194
	v_cvt_f16_i16_sdwa v190, sext(v190) dst_sel:DWORD dst_unused:UNUSED_PAD src0_sel:BYTE_0
	s_waitcnt vmcnt(21)
	v_mul_u32_u24_e32 v11, 0x10001, v11
	v_cvt_f16_i16_sdwa v199, sext(v199) dst_sel:DWORD dst_unused:UNUSED_PAD src0_sel:BYTE_0
	v_or_b32_sdwa v197, v205, v197 dst_sel:DWORD dst_unused:UNUSED_PAD src0_sel:DWORD src1_sel:BYTE_1
	v_lshlrev_b16 v205, 8, v194
	v_pack_b32_f16 v13, v192, v13
	v_mul_u32_u24_sdwa v191, v206, v185 dst_sel:DWORD dst_unused:UNUSED_PAD src0_sel:WORD_0 src1_sel:DWORD
	v_pack_b32_f16 v190, v190, v199
	v_and_b32_e32 v192, 0xf00, v194
	v_add_nc_u16 v194, 0xf800, v197
	v_add_nc_u16 v197, 0xf800, v205
	v_pk_mul_f16 v13, v13, v11
	s_waitcnt vmcnt(20)
	v_ashrrev_i32_e32 v199, v184, v200
	v_pk_mul_f16 v11, v190, v11
	v_lshrrev_b32_e32 v190, 8, v194
	v_or_b32_sdwa v192, v192, v197 dst_sel:DWORD dst_unused:UNUSED_PAD src0_sel:DWORD src1_sel:BYTE_1
	v_pk_fma_f16 v13, v13, v191, v193
	v_and_b32_e32 v193, 0xf0f0f0f, v199
	v_cvt_f16_i16_sdwa v194, sext(v194) dst_sel:DWORD dst_unused:UNUSED_PAD src0_sel:BYTE_0
	v_cvt_f16_i16_sdwa v190, sext(v190) dst_sel:DWORD dst_unused:UNUSED_PAD src0_sel:BYTE_0
	v_add_nc_u16 v192, 0xf800, v192
	v_pk_fma_f16 v10, v11, v191, v10
	v_lshlrev_b16 v11, 8, v193
	s_waitcnt vmcnt(19)
	v_mul_u32_u24_e32 v12, 0x10001, v12
	v_pack_b32_f16 v190, v194, v190
	v_lshrrev_b32_e32 v191, 8, v192
	v_and_b32_e32 v194, 0xf00, v193
	v_add_nc_u16 v11, 0xf800, v11
	v_lshrrev_b32_e32 v193, 16, v193
	v_cvt_f16_i16_sdwa v192, sext(v192) dst_sel:DWORD dst_unused:UNUSED_PAD src0_sel:BYTE_0
	v_cvt_f16_i16_sdwa v191, sext(v191) dst_sel:DWORD dst_unused:UNUSED_PAD src0_sel:BYTE_0
	v_mul_u32_u24_sdwa v197, v206, v185 dst_sel:DWORD dst_unused:UNUSED_PAD src0_sel:WORD_1 src1_sel:DWORD
	v_or_b32_sdwa v11, v194, v11 dst_sel:DWORD dst_unused:UNUSED_PAD src0_sel:DWORD src1_sel:BYTE_1
	v_lshlrev_b16 v194, 8, v193
	v_pk_mul_f16 v190, v190, v12
	v_pack_b32_f16 v191, v192, v191
	v_and_b32_e32 v192, 0xf00, v193
	v_add_nc_u16 v11, 0xf800, v11
	v_add_nc_u16 v193, 0xf800, v194
	s_waitcnt vmcnt(18)
	v_ashrrev_i32_e32 v194, v184, v198
	v_pk_mul_f16 v12, v191, v12
	v_pk_fma_f16 v13, v190, v197, v13
	v_lshrrev_b32_e32 v190, 8, v11
	v_or_b32_sdwa v191, v192, v193 dst_sel:DWORD dst_unused:UNUSED_PAD src0_sel:DWORD src1_sel:BYTE_1
	v_and_b32_e32 v192, 0xf0f0f0f, v194
	v_pk_fma_f16 v10, v12, v197, v10
	v_cvt_f16_i16_sdwa v11, sext(v11) dst_sel:DWORD dst_unused:UNUSED_PAD src0_sel:BYTE_0
	v_cvt_f16_i16_sdwa v12, sext(v190) dst_sel:DWORD dst_unused:UNUSED_PAD src0_sel:BYTE_0
	v_add_nc_u16 v190, 0xf800, v191
	v_lshrrev_b32_e32 v191, 16, v192
	v_lshlrev_b16 v194, 8, v192
	s_waitcnt vmcnt(17)
	v_mul_u32_u24_e32 v193, 0x10001, v195
	v_pack_b32_f16 v11, v11, v12
	v_lshrrev_b32_e32 v12, 8, v190
	v_lshlrev_b16 v195, 8, v191
	v_and_b32_e32 v192, 0xf00, v192
	v_add_nc_u16 v194, 0xf800, v194
	v_cvt_f16_i16_sdwa v190, sext(v190) dst_sel:DWORD dst_unused:UNUSED_PAD src0_sel:BYTE_0
	v_cvt_f16_i16_sdwa v12, sext(v12) dst_sel:DWORD dst_unused:UNUSED_PAD src0_sel:BYTE_0
	v_and_b32_e32 v191, 0xf00, v191
	v_add_nc_u16 v195, 0xf800, v195
	v_or_b32_sdwa v192, v192, v194 dst_sel:DWORD dst_unused:UNUSED_PAD src0_sel:DWORD src1_sel:BYTE_1
	v_mul_u32_u24_sdwa v194, v207, v185 dst_sel:DWORD dst_unused:UNUSED_PAD src0_sel:WORD_0 src1_sel:DWORD
	v_pack_b32_f16 v12, v190, v12
	v_pk_mul_f16 v11, v11, v193
	v_or_b32_sdwa v190, v191, v195 dst_sel:DWORD dst_unused:UNUSED_PAD src0_sel:DWORD src1_sel:BYTE_1
	v_add_nc_u16 v191, 0xf800, v192
	s_waitcnt vmcnt(16)
	v_ashrrev_i32_e32 v192, v184, v203
	v_pk_mul_f16 v12, v12, v193
	v_pk_fma_f16 v11, v11, v194, v13
	v_add_nc_u16 v13, 0xf800, v190
	v_lshrrev_b32_e32 v190, 8, v191
	v_and_b32_e32 v192, 0xf0f0f0f, v192
	v_cvt_f16_i16_sdwa v191, sext(v191) dst_sel:DWORD dst_unused:UNUSED_PAD src0_sel:BYTE_0
	s_waitcnt vmcnt(15)
	v_mul_u32_u24_e32 v199, 0x10001, v202
	v_lshrrev_b32_e32 v195, 8, v13
	v_cvt_f16_i16_sdwa v190, sext(v190) dst_sel:DWORD dst_unused:UNUSED_PAD src0_sel:BYTE_0
	v_lshlrev_b16 v197, 8, v192
	v_lshrrev_b32_e32 v198, 16, v192
	v_and_b32_e32 v192, 0xf00, v192
	v_cvt_f16_i16_sdwa v13, sext(v13) dst_sel:DWORD dst_unused:UNUSED_PAD src0_sel:BYTE_0
	v_cvt_f16_i16_sdwa v195, sext(v195) dst_sel:DWORD dst_unused:UNUSED_PAD src0_sel:BYTE_0
	v_add_nc_u16 v197, 0xf800, v197
	v_lshlrev_b16 v200, 8, v198
	v_pack_b32_f16 v190, v191, v190
	v_mul_u32_u24_sdwa v193, v207, v185 dst_sel:DWORD dst_unused:UNUSED_PAD src0_sel:WORD_1 src1_sel:DWORD
	v_pack_b32_f16 v13, v13, v195
	v_or_b32_sdwa v191, v192, v197 dst_sel:DWORD dst_unused:UNUSED_PAD src0_sel:DWORD src1_sel:BYTE_1
	v_and_b32_e32 v192, 0xf00, v198
	v_add_nc_u16 v195, 0xf800, v200
	v_pk_mul_f16 v190, v190, v199
	v_pk_fma_f16 v10, v12, v194, v10
	v_add_nc_u16 v12, 0xf800, v191
	v_pk_mul_f16 v13, v13, v199
	v_or_b32_sdwa v191, v192, v195 dst_sel:DWORD dst_unused:UNUSED_PAD src0_sel:DWORD src1_sel:BYTE_1
	v_pk_fma_f16 v11, v190, v193, v11
	s_waitcnt vmcnt(14)
	v_ashrrev_i32_e32 v190, v184, v213
	v_lshrrev_b32_e32 v192, 8, v12
	v_pk_fma_f16 v10, v13, v193, v10
	v_add_nc_u16 v13, 0xf800, v191
	v_cvt_f16_i16_sdwa v12, sext(v12) dst_sel:DWORD dst_unused:UNUSED_PAD src0_sel:BYTE_0
	v_and_b32_e32 v190, 0xf0f0f0f, v190
	v_cvt_f16_i16_sdwa v191, sext(v192) dst_sel:DWORD dst_unused:UNUSED_PAD src0_sel:BYTE_0
	s_waitcnt vmcnt(13)
	v_mul_u32_u24_e32 v193, 0x10001, v217
	v_lshrrev_b32_e32 v194, 8, v13
	v_cvt_f16_i16_sdwa v13, sext(v13) dst_sel:DWORD dst_unused:UNUSED_PAD src0_sel:BYTE_0
	v_lshrrev_b32_e32 v195, 16, v190
	v_pack_b32_f16 v12, v12, v191
	v_lshlrev_b16 v191, 8, v190
	v_cvt_f16_i16_sdwa v194, sext(v194) dst_sel:DWORD dst_unused:UNUSED_PAD src0_sel:BYTE_0
	v_and_b32_e32 v190, 0xf00, v190
	s_waitcnt lgkmcnt(0)
	v_mul_u32_u24_sdwa v192, v14, v185 dst_sel:DWORD dst_unused:UNUSED_PAD src0_sel:WORD_0 src1_sel:DWORD
	v_lshlrev_b16 v197, 8, v195
	v_add_nc_u16 v191, 0xf800, v191
	v_pack_b32_f16 v13, v13, v194
	v_pk_mul_f16 v12, v12, v193
	v_and_b32_e32 v194, 0xf00, v195
	v_add_nc_u16 v195, 0xf800, v197
	v_or_b32_sdwa v190, v190, v191 dst_sel:DWORD dst_unused:UNUSED_PAD src0_sel:DWORD src1_sel:BYTE_1
	s_waitcnt vmcnt(12)
	v_ashrrev_i32_e32 v191, v184, v216
	v_pk_mul_f16 v13, v13, v193
	v_pk_fma_f16 v11, v12, v192, v11
	v_or_b32_sdwa v12, v194, v195 dst_sel:DWORD dst_unused:UNUSED_PAD src0_sel:DWORD src1_sel:BYTE_1
	v_add_nc_u16 v190, 0xf800, v190
	v_and_b32_e32 v191, 0xf0f0f0f, v191
	v_pk_fma_f16 v10, v13, v192, v10
	v_mul_u32_u24_sdwa v13, v14, v185 dst_sel:DWORD dst_unused:UNUSED_PAD src0_sel:WORD_1 src1_sel:DWORD
	v_add_nc_u16 v12, 0xf800, v12
	v_lshrrev_b32_e32 v14, 8, v190
	v_lshlrev_b16 v192, 8, v191
	v_lshrrev_b32_e32 v193, 16, v191
	v_and_b32_e32 v191, 0xf00, v191
	v_cvt_f16_i16_sdwa v190, sext(v190) dst_sel:DWORD dst_unused:UNUSED_PAD src0_sel:BYTE_0
	v_cvt_f16_i16_sdwa v14, sext(v14) dst_sel:DWORD dst_unused:UNUSED_PAD src0_sel:BYTE_0
	v_add_nc_u16 v192, 0xf800, v192
	v_lshlrev_b16 v195, 8, v193
	v_lshrrev_b32_e32 v194, 8, v12
	v_cvt_f16_i16_sdwa v12, sext(v12) dst_sel:DWORD dst_unused:UNUSED_PAD src0_sel:BYTE_0
	v_pack_b32_f16 v14, v190, v14
	v_or_b32_sdwa v191, v191, v192 dst_sel:DWORD dst_unused:UNUSED_PAD src0_sel:DWORD src1_sel:BYTE_1
	v_and_b32_e32 v192, 0xf00, v193
	v_add_nc_u16 v193, 0xf800, v195
	v_cvt_f16_i16_sdwa v194, sext(v194) dst_sel:DWORD dst_unused:UNUSED_PAD src0_sel:BYTE_0
	s_waitcnt vmcnt(11)
	v_mul_u32_u24_e32 v195, 0x10001, v219
	v_add_nc_u16 v190, 0xf800, v191
	v_add_co_u32 v48, vcc_lo, v48, s3
	v_or_b32_sdwa v191, v192, v193 dst_sel:DWORD dst_unused:UNUSED_PAD src0_sel:DWORD src1_sel:BYTE_1
	s_waitcnt vmcnt(10)
	v_ashrrev_i32_e32 v192, v184, v218
	v_lshrrev_b32_e32 v193, 8, v190
	v_pack_b32_f16 v12, v12, v194
	v_cvt_f16_i16_sdwa v190, sext(v190) dst_sel:DWORD dst_unused:UNUSED_PAD src0_sel:BYTE_0
	v_add_nc_u16 v191, 0xf800, v191
	v_and_b32_e32 v192, 0xf0f0f0f, v192
	v_cvt_f16_i16_sdwa v193, sext(v193) dst_sel:DWORD dst_unused:UNUSED_PAD src0_sel:BYTE_0
	v_add_co_ci_u32_e64 v49, null, 0, v49, vcc_lo
	v_add_co_u32 v34, vcc_lo, v34, s14
	v_lshrrev_b32_e32 v194, 16, v192
	v_pk_mul_f16 v14, v14, v195
	v_pk_mul_f16 v12, v12, v195
	v_lshrrev_b32_e32 v195, 8, v191
	v_pack_b32_f16 v190, v190, v193
	v_lshlrev_b16 v193, 8, v192
	v_lshlrev_b16 v197, 8, v194
	v_add_co_ci_u32_e64 v35, null, s15, v35, vcc_lo
	v_add_co_u32 v50, vcc_lo, v50, s9
	v_add_co_ci_u32_e64 v51, null, 0, v51, vcc_lo
	v_add_co_u32 v52, vcc_lo, v52, s3
	v_pk_fma_f16 v11, v14, v13, v11
	s_waitcnt vmcnt(9)
	v_mul_u32_u24_e32 v14, 0x10001, v215
	v_cvt_f16_i16_sdwa v191, sext(v191) dst_sel:DWORD dst_unused:UNUSED_PAD src0_sel:BYTE_0
	v_cvt_f16_i16_sdwa v195, sext(v195) dst_sel:DWORD dst_unused:UNUSED_PAD src0_sel:BYTE_0
	v_and_b32_e32 v192, 0xf00, v192
	v_add_nc_u16 v193, 0xf800, v193
	v_and_b32_e32 v194, 0xf00, v194
	v_add_nc_u16 v197, 0xf800, v197
	v_add_co_ci_u32_e64 v53, null, 0, v53, vcc_lo
	v_add_co_u32 v54, vcc_lo, v54, s3
	v_add_co_ci_u32_e64 v55, null, 0, v55, vcc_lo
	v_add_co_u32 v56, vcc_lo, v56, s9
	;; [unrolled: 2-line block ×3, first 2 shown]
	v_mul_u32_u24_sdwa v198, v15, v185 dst_sel:DWORD dst_unused:UNUSED_PAD src0_sel:WORD_0 src1_sel:DWORD
	v_pack_b32_f16 v191, v191, v195
	v_or_b32_sdwa v192, v192, v193 dst_sel:DWORD dst_unused:UNUSED_PAD src0_sel:DWORD src1_sel:BYTE_1
	v_pk_mul_f16 v190, v190, v14
	v_or_b32_sdwa v193, v194, v197 dst_sel:DWORD dst_unused:UNUSED_PAD src0_sel:DWORD src1_sel:BYTE_1
	v_add_co_ci_u32_e64 v59, null, 0, v59, vcc_lo
	v_add_co_u32 v60, vcc_lo, v60, s9
	v_add_co_ci_u32_e64 v61, null, 0, v61, vcc_lo
	v_add_co_u32 v62, vcc_lo, v62, s3
	v_pk_fma_f16 v10, v12, v13, v10
	v_pk_mul_f16 v12, v191, v14
	v_add_nc_u16 v13, 0xf800, v192
	v_pk_fma_f16 v11, v190, v198, v11
	v_add_nc_u16 v14, 0xf800, v193
	s_waitcnt vmcnt(8)
	v_ashrrev_i32_e32 v190, v184, v222
	v_add_co_ci_u32_e64 v63, null, 0, v63, vcc_lo
	v_add_co_u32 v64, vcc_lo, v64, s9
	v_add_co_ci_u32_e64 v65, null, 0, v65, vcc_lo
	v_add_co_u32 v66, vcc_lo, v66, s9
	;; [unrolled: 2-line block ×3, first 2 shown]
	v_pk_fma_f16 v10, v12, v198, v10
	v_lshrrev_b32_e32 v12, 8, v13
	v_lshrrev_b32_e32 v191, 8, v14
	v_and_b32_e32 v190, 0xf0f0f0f, v190
	v_add_co_ci_u32_e64 v69, null, 0, v69, vcc_lo
	v_add_co_u32 v70, vcc_lo, v70, s9
	v_add_co_ci_u32_e64 v71, null, 0, v71, vcc_lo
	v_add_co_u32 v72, vcc_lo, v72, s9
	v_cvt_f16_i16_sdwa v13, sext(v13) dst_sel:DWORD dst_unused:UNUSED_PAD src0_sel:BYTE_0
	v_cvt_f16_i16_sdwa v12, sext(v12) dst_sel:DWORD dst_unused:UNUSED_PAD src0_sel:BYTE_0
	;; [unrolled: 1-line block ×4, first 2 shown]
	v_lshrrev_b32_e32 v192, 16, v190
	v_lshlrev_b16 v194, 8, v190
	v_add_co_ci_u32_e64 v73, null, 0, v73, vcc_lo
	v_add_co_u32 v74, vcc_lo, v74, s9
	v_add_co_ci_u32_e64 v75, null, 0, v75, vcc_lo
	v_add_co_u32 v76, vcc_lo, v76, s9
	v_add_co_ci_u32_e64 v77, null, 0, v77, vcc_lo
	v_add_co_u32 v78, vcc_lo, v78, s9
	s_waitcnt vmcnt(7)
	v_mul_u32_u24_e32 v193, 0x10001, v211
	v_pack_b32_f16 v12, v13, v12
	v_pack_b32_f16 v13, v14, v191
	v_lshlrev_b16 v14, 8, v192
	v_and_b32_e32 v190, 0xf00, v190
	v_add_nc_u16 v191, 0xf800, v194
	s_waitcnt vmcnt(6)
	v_ashrrev_i32_e32 v194, v184, v214
	v_add_co_ci_u32_e64 v79, null, 0, v79, vcc_lo
	v_add_co_u32 v80, vcc_lo, v80, s9
	v_add_co_ci_u32_e64 v81, null, 0, v81, vcc_lo
	v_add_co_u32 v82, vcc_lo, v82, s9
	v_mul_u32_u24_sdwa v15, v15, v185 dst_sel:DWORD dst_unused:UNUSED_PAD src0_sel:WORD_1 src1_sel:DWORD
	v_and_b32_e32 v192, 0xf00, v192
	v_add_nc_u16 v14, 0xf800, v14
	v_or_b32_sdwa v190, v190, v191 dst_sel:DWORD dst_unused:UNUSED_PAD src0_sel:DWORD src1_sel:BYTE_1
	v_pk_mul_f16 v13, v13, v193
	v_and_b32_e32 v191, 0xf0f0f0f, v194
	v_add_co_ci_u32_e64 v83, null, 0, v83, vcc_lo
	v_add_co_u32 v84, vcc_lo, v84, s9
	v_add_co_ci_u32_e64 v85, null, 0, v85, vcc_lo
	v_add_co_u32 v86, vcc_lo, v86, s9
	;; [unrolled: 2-line block ×3, first 2 shown]
	v_pk_mul_f16 v12, v12, v193
	v_or_b32_sdwa v14, v192, v14 dst_sel:DWORD dst_unused:UNUSED_PAD src0_sel:DWORD src1_sel:BYTE_1
	v_pk_fma_f16 v10, v13, v15, v10
	v_lshrrev_b32_e32 v13, 16, v191
	v_add_co_ci_u32_e64 v89, null, 0, v89, vcc_lo
	v_add_co_u32 v90, vcc_lo, v90, s9
	v_add_co_ci_u32_e64 v91, null, 0, v91, vcc_lo
	v_add_co_u32 v92, vcc_lo, v92, s9
	v_pk_fma_f16 v11, v12, v15, v11
	v_add_nc_u16 v12, 0xf800, v190
	v_add_nc_u16 v14, 0xf800, v14
	v_lshlrev_b16 v15, 8, v191
	v_lshlrev_b16 v192, 8, v13
	v_add_co_ci_u32_e64 v93, null, 0, v93, vcc_lo
	v_add_co_u32 v94, vcc_lo, v94, s9
	v_add_co_ci_u32_e64 v95, null, 0, v95, vcc_lo
	v_add_co_u32 v96, vcc_lo, v96, s9
	;; [unrolled: 2-line block ×3, first 2 shown]
	v_lshrrev_b32_e32 v190, 8, v12
	v_and_b32_e32 v191, 0xf00, v191
	v_add_nc_u16 v15, 0xf800, v15
	v_lshrrev_b32_e32 v193, 8, v14
	v_and_b32_e32 v13, 0xf00, v13
	v_add_nc_u16 v192, 0xf800, v192
	v_add_co_ci_u32_e64 v99, null, 0, v99, vcc_lo
	v_add_co_u32 v100, vcc_lo, v100, s9
	v_add_co_ci_u32_e64 v101, null, 0, v101, vcc_lo
	v_add_co_u32 v102, vcc_lo, v102, s9
	v_cvt_f16_i16_sdwa v12, sext(v12) dst_sel:DWORD dst_unused:UNUSED_PAD src0_sel:BYTE_0
	v_cvt_f16_i16_sdwa v190, sext(v190) dst_sel:DWORD dst_unused:UNUSED_PAD src0_sel:BYTE_0
	v_or_b32_sdwa v15, v191, v15 dst_sel:DWORD dst_unused:UNUSED_PAD src0_sel:DWORD src1_sel:BYTE_1
	v_cvt_f16_i16_sdwa v14, sext(v14) dst_sel:DWORD dst_unused:UNUSED_PAD src0_sel:BYTE_0
	v_cvt_f16_i16_sdwa v191, sext(v193) dst_sel:DWORD dst_unused:UNUSED_PAD src0_sel:BYTE_0
	v_or_b32_sdwa v13, v13, v192 dst_sel:DWORD dst_unused:UNUSED_PAD src0_sel:DWORD src1_sel:BYTE_1
	v_add_co_ci_u32_e64 v103, null, 0, v103, vcc_lo
	v_add_co_u32 v104, vcc_lo, v104, s9
	v_add_co_ci_u32_e64 v105, null, 0, v105, vcc_lo
	v_add_co_u32 v106, vcc_lo, v106, s9
	v_add_co_ci_u32_e64 v107, null, 0, v107, vcc_lo
	v_add_co_u32 v108, vcc_lo, v108, s9
	s_waitcnt vmcnt(5)
	v_mul_u32_u24_e32 v192, 0x10001, v220
	v_add_nc_u16 v15, 0xf800, v15
	v_pack_b32_f16 v12, v12, v190
	v_pack_b32_f16 v14, v14, v191
	v_add_nc_u16 v13, 0xf800, v13
	v_add_co_ci_u32_e64 v109, null, 0, v109, vcc_lo
	v_add_co_u32 v110, vcc_lo, v110, s9
	v_add_co_ci_u32_e64 v111, null, 0, v111, vcc_lo
	v_add_co_u32 v112, vcc_lo, v112, s9
	v_lshrrev_b32_e32 v191, 8, v15
	v_pk_mul_f16 v12, v12, v192
	v_pk_mul_f16 v14, v14, v192
	v_lshrrev_b32_e32 v192, 8, v13
	v_add_co_ci_u32_e64 v113, null, 0, v113, vcc_lo
	v_add_co_u32 v114, vcc_lo, v114, s9
	v_add_co_ci_u32_e64 v115, null, 0, v115, vcc_lo
	v_add_co_u32 v116, vcc_lo, v116, s9
	;; [unrolled: 2-line block ×3, first 2 shown]
	v_mul_u32_u24_sdwa v190, v16, v185 dst_sel:DWORD dst_unused:UNUSED_PAD src0_sel:WORD_0 src1_sel:DWORD
	v_cvt_f16_i16_sdwa v15, sext(v15) dst_sel:DWORD dst_unused:UNUSED_PAD src0_sel:BYTE_0
	v_cvt_f16_i16_sdwa v191, sext(v191) dst_sel:DWORD dst_unused:UNUSED_PAD src0_sel:BYTE_0
	;; [unrolled: 1-line block ×3, first 2 shown]
	s_waitcnt vmcnt(4)
	v_ashrrev_i32_e32 v193, v184, v201
	v_cvt_f16_i16_sdwa v192, sext(v192) dst_sel:DWORD dst_unused:UNUSED_PAD src0_sel:BYTE_0
	v_add_co_ci_u32_e64 v119, null, 0, v119, vcc_lo
	v_add_co_u32 v120, vcc_lo, v120, s9
	v_add_co_ci_u32_e64 v121, null, 0, v121, vcc_lo
	v_add_co_u32 v122, vcc_lo, v122, s9
	v_pk_fma_f16 v11, v12, v190, v11
	s_waitcnt vmcnt(3)
	v_mul_u32_u24_e32 v12, 0x10001, v208
	v_pack_b32_f16 v15, v15, v191
	v_and_b32_e32 v191, 0xf0f0f0f, v193
	v_pack_b32_f16 v13, v13, v192
	v_add_co_ci_u32_e64 v123, null, 0, v123, vcc_lo
	v_add_co_u32 v124, vcc_lo, v124, s9
	v_add_co_ci_u32_e64 v125, null, 0, v125, vcc_lo
	v_add_co_u32 v126, vcc_lo, v126, s9
	;; [unrolled: 2-line block ×3, first 2 shown]
	v_pk_fma_f16 v10, v14, v190, v10
	v_mul_u32_u24_sdwa v14, v16, v185 dst_sel:DWORD dst_unused:UNUSED_PAD src0_sel:WORD_1 src1_sel:DWORD
	v_pk_mul_f16 v15, v15, v12
	v_lshrrev_b32_e32 v16, 16, v191
	v_pk_mul_f16 v12, v13, v12
	s_waitcnt vmcnt(2)
	v_ashrrev_i32_e32 v13, v184, v196
	v_add_co_ci_u32_e64 v129, null, 0, v129, vcc_lo
	v_add_co_u32 v130, vcc_lo, v130, s9
	v_add_co_ci_u32_e64 v131, null, 0, v131, vcc_lo
	v_add_co_u32 v132, vcc_lo, v132, s9
	v_lshlrev_b16 v190, 8, v191
	v_pk_fma_f16 v11, v15, v14, v11
	v_lshlrev_b16 v15, 8, v16
	v_and_b32_e32 v13, 0xf0f0f0f, v13
	v_add_co_ci_u32_e64 v133, null, 0, v133, vcc_lo
	v_add_co_u32 v134, vcc_lo, v134, s9
	v_add_co_ci_u32_e64 v135, null, 0, v135, vcc_lo
	v_add_co_u32 v136, vcc_lo, v136, s9
	;; [unrolled: 2-line block ×3, first 2 shown]
	v_and_b32_e32 v191, 0xf00, v191
	v_add_nc_u16 v190, 0xf800, v190
	v_pk_fma_f16 v10, v12, v14, v10
	v_and_b32_e32 v12, 0xf00, v16
	v_add_nc_u16 v14, 0xf800, v15
	v_lshrrev_b32_e32 v15, 16, v13
	v_add_co_ci_u32_e64 v139, null, 0, v139, vcc_lo
	v_add_co_u32 v140, vcc_lo, v140, s9
	v_add_co_ci_u32_e64 v141, null, 0, v141, vcc_lo
	v_add_co_u32 v142, vcc_lo, v142, s9
	v_or_b32_sdwa v16, v191, v190 dst_sel:DWORD dst_unused:UNUSED_PAD src0_sel:DWORD src1_sel:BYTE_1
	v_lshlrev_b16 v191, 8, v13
	v_or_b32_sdwa v12, v12, v14 dst_sel:DWORD dst_unused:UNUSED_PAD src0_sel:DWORD src1_sel:BYTE_1
	v_lshlrev_b16 v14, 8, v15
	v_add_co_ci_u32_e64 v143, null, 0, v143, vcc_lo
	v_add_co_u32 v144, vcc_lo, v144, s9
	v_add_co_ci_u32_e64 v145, null, 0, v145, vcc_lo
	v_add_co_u32 v146, vcc_lo, v146, s9
	;; [unrolled: 2-line block ×3, first 2 shown]
	v_add_nc_u16 v16, 0xf800, v16
	v_and_b32_e32 v13, 0xf00, v13
	v_add_nc_u16 v191, 0xf800, v191
	v_and_b32_e32 v15, 0xf00, v15
	v_add_nc_u16 v14, 0xf800, v14
	v_add_co_ci_u32_e64 v149, null, 0, v149, vcc_lo
	v_add_co_u32 v150, vcc_lo, v150, s9
	v_add_co_ci_u32_e64 v151, null, 0, v151, vcc_lo
	v_add_co_u32 v152, vcc_lo, v152, s9
	v_add_nc_u16 v12, 0xf800, v12
	v_lshrrev_b32_e32 v192, 8, v16
	v_or_b32_sdwa v13, v13, v191 dst_sel:DWORD dst_unused:UNUSED_PAD src0_sel:DWORD src1_sel:BYTE_1
	v_or_b32_sdwa v14, v15, v14 dst_sel:DWORD dst_unused:UNUSED_PAD src0_sel:DWORD src1_sel:BYTE_1
	v_add_co_ci_u32_e64 v153, null, 0, v153, vcc_lo
	v_add_co_u32 v154, vcc_lo, v154, s9
	v_add_co_ci_u32_e64 v155, null, 0, v155, vcc_lo
	v_add_co_u32 v156, vcc_lo, v156, s9
	;; [unrolled: 2-line block ×3, first 2 shown]
	v_cvt_f16_i16_sdwa v16, sext(v16) dst_sel:DWORD dst_unused:UNUSED_PAD src0_sel:BYTE_0
	v_lshrrev_b32_e32 v15, 8, v12
	v_cvt_f16_i16_sdwa v191, sext(v192) dst_sel:DWORD dst_unused:UNUSED_PAD src0_sel:BYTE_0
	v_add_nc_u16 v13, 0xf800, v13
	v_add_nc_u16 v14, 0xf800, v14
	v_add_co_ci_u32_e64 v159, null, 0, v159, vcc_lo
	v_add_co_u32 v160, vcc_lo, v160, s9
	v_add_co_ci_u32_e64 v161, null, 0, v161, vcc_lo
	v_add_co_u32 v162, vcc_lo, v162, s9
	v_cvt_f16_i16_sdwa v12, sext(v12) dst_sel:DWORD dst_unused:UNUSED_PAD src0_sel:BYTE_0
	v_cvt_f16_i16_sdwa v15, sext(v15) dst_sel:DWORD dst_unused:UNUSED_PAD src0_sel:BYTE_0
	v_lshrrev_b32_e32 v193, 8, v13
	v_pack_b32_f16 v16, v16, v191
	v_lshrrev_b32_e32 v191, 8, v14
	v_add_co_ci_u32_e64 v163, null, 0, v163, vcc_lo
	v_add_co_u32 v164, vcc_lo, v164, s9
	v_add_co_ci_u32_e64 v165, null, 0, v165, vcc_lo
	v_add_co_u32 v166, vcc_lo, v166, s9
	v_add_co_ci_u32_e64 v167, null, 0, v167, vcc_lo
	v_add_co_u32 v168, vcc_lo, v168, s9
	s_waitcnt vmcnt(1)
	v_mul_u32_u24_e32 v192, 0x10001, v204
	v_pack_b32_f16 v12, v12, v15
	v_cvt_f16_i16_sdwa v13, sext(v13) dst_sel:DWORD dst_unused:UNUSED_PAD src0_sel:BYTE_0
	v_cvt_f16_i16_sdwa v15, sext(v193) dst_sel:DWORD dst_unused:UNUSED_PAD src0_sel:BYTE_0
	;; [unrolled: 1-line block ×4, first 2 shown]
	v_add_co_ci_u32_e64 v169, null, 0, v169, vcc_lo
	v_add_co_u32 v170, vcc_lo, v170, s9
	v_add_co_ci_u32_e64 v171, null, 0, v171, vcc_lo
	v_add_co_u32 v172, vcc_lo, v172, s9
	v_mul_u32_u24_sdwa v190, v17, v185 dst_sel:DWORD dst_unused:UNUSED_PAD src0_sel:WORD_0 src1_sel:DWORD
	v_pk_mul_f16 v16, v16, v192
	v_pk_mul_f16 v12, v12, v192
	s_waitcnt vmcnt(0)
	v_mul_u32_u24_e32 v189, 0x10001, v189
	v_pack_b32_f16 v13, v13, v15
	v_pack_b32_f16 v14, v14, v191
	v_add_co_ci_u32_e64 v173, null, 0, v173, vcc_lo
	v_add_co_u32 v174, vcc_lo, v174, s9
	v_add_co_ci_u32_e64 v175, null, 0, v175, vcc_lo
	v_add_co_u32 v176, vcc_lo, v176, s9
	;; [unrolled: 2-line block ×3, first 2 shown]
	v_pk_fma_f16 v11, v16, v190, v11
	v_pk_fma_f16 v10, v12, v190, v10
	v_mul_u32_u24_sdwa v12, v17, v185 dst_sel:DWORD dst_unused:UNUSED_PAD src0_sel:WORD_1 src1_sel:DWORD
	v_pk_mul_f16 v13, v13, v189
	v_pk_mul_f16 v14, v14, v189
	v_add_co_ci_u32_e64 v179, null, 0, v179, vcc_lo
	v_add_co_u32 v180, vcc_lo, v180, s9
	v_add_co_ci_u32_e64 v181, null, 0, v181, vcc_lo
	v_add_co_u32 v182, vcc_lo, v182, s9
	v_pk_fma_f16 v15, v13, v12, v11
	v_pk_fma_f16 v14, v14, v12, v10
	v_add_co_ci_u32_e64 v183, null, 0, v183, vcc_lo
	s_cbranch_scc1 .LBB18_26
; %bb.24:                               ;   in Loop: Header=BB18_11 Depth=1
	v_mov_b32_e32 v10, v186
	s_branch .LBB18_11
.LBB18_25:
	v_mov_b32_e32 v15, 0
	v_mov_b32_e32 v186, 0xfeffffff
	;; [unrolled: 1-line block ×3, first 2 shown]
.LBB18_26:
	v_or_b32_e32 v2, s7, v1
	s_cmp_lg_u64 s[16:17], 0
	s_cselect_b32 s1, -1, 0
	v_cmp_eq_u32_e32 vcc_lo, 0, v2
	s_and_b32 s2, vcc_lo, s1
	s_and_saveexec_b32 s1, s2
	s_cbranch_execz .LBB18_28
; %bb.27:
	s_lshl_b64 s[2:3], s[30:31], 2
	v_max_f32_e32 v2, v186, v186
	s_add_u32 s2, s16, s2
	s_addc_u32 s3, s17, s3
	s_load_dword s2, s[2:3], 0x0
	s_waitcnt lgkmcnt(0)
	v_max_f32_e64 v3, s2, s2
	v_max_f32_e32 v2, v2, v3
	v_sub_f32_e32 v3, v186, v2
	v_sub_f32_e32 v4, s2, v2
	v_mov_b32_e32 v186, v2
	v_mul_f32_e32 v5, 0x3fb8aa3b, v3
	v_mul_f32_e32 v6, 0x3fb8aa3b, v4
	v_cmp_ngt_f32_e32 vcc_lo, 0xc2ce8ed0, v3
	v_fma_f32 v7, 0x3fb8aa3b, v3, -v5
	v_rndne_f32_e32 v8, v5
	v_fma_f32 v9, 0x3fb8aa3b, v4, -v6
	v_rndne_f32_e32 v10, v6
	v_fmac_f32_e32 v7, 0x32a5705f, v3
	v_sub_f32_e32 v5, v5, v8
	v_fmac_f32_e32 v9, 0x32a5705f, v4
	v_sub_f32_e32 v6, v6, v10
	v_add_f32_e32 v5, v5, v7
	v_cvt_i32_f32_e32 v7, v8
	v_add_f32_e32 v6, v6, v9
	v_cvt_i32_f32_e32 v8, v10
	v_exp_f32_e32 v5, v5
	v_exp_f32_e32 v6, v6
	v_ldexp_f32 v5, v5, v7
	v_ldexp_f32 v6, v6, v8
	v_cndmask_b32_e32 v5, 0, v5, vcc_lo
	v_cmp_ngt_f32_e32 vcc_lo, 0xc2ce8ed0, v4
	v_cndmask_b32_e32 v6, 0, v6, vcc_lo
	v_cmp_nlt_f32_e32 vcc_lo, 0x42b17218, v3
	v_cndmask_b32_e32 v3, 0x7f800000, v5, vcc_lo
	v_cmp_nlt_f32_e32 vcc_lo, 0x42b17218, v4
	v_mov_b32_e32 v5, 0x10001
	v_cndmask_b32_e32 v4, 0x7f800000, v6, vcc_lo
	v_cmp_eq_u32_e32 vcc_lo, 0, v0
	v_cvt_f16_f32_e32 v6, v3
	v_cndmask_b32_e32 v4, 0, v4, vcc_lo
	v_mul_u32_u24_sdwa v5, v6, v5 dst_sel:DWORD dst_unused:UNUSED_PAD src0_sel:WORD_0 src1_sel:DWORD
	v_fmac_f32_e32 v4, v41, v3
	v_pk_mul_f16 v15, v15, v5
	v_pk_mul_f16 v14, v14, v5
	v_mov_b32_e32 v41, v4
.LBB18_28:
	s_or_b32 exec_lo, exec_lo, s1
	s_and_saveexec_b32 s1, s0
	s_cbranch_execz .LBB18_30
; %bb.29:
	v_mov_b32_e32 v2, 0xfeffffff
	v_mov_b32_e32 v3, 0
	v_add_nc_u32_e32 v4, 0x400, v40
	ds_write2_b32 v4, v2, v3 offset1:32
.LBB18_30:
	s_or_b32 exec_lo, exec_lo, s1
	v_cmp_eq_u32_e32 vcc_lo, 0, v0
	v_lshlrev_b32_e32 v4, 2, v1
	s_waitcnt lgkmcnt(0)
	s_barrier
	buffer_gl0_inv
	s_and_saveexec_b32 s0, vcc_lo
; %bb.31:
	ds_write_b32 v4, v186 offset:1024
; %bb.32:
	s_or_b32 exec_lo, exec_lo, s0
	s_waitcnt lgkmcnt(0)
	s_barrier
	buffer_gl0_inv
	ds_read_b32 v2, v40 offset:1024
	v_xor_b32_e32 v3, 16, v36
	v_xor_b32_e32 v6, 8, v36
	s_load_dword s1, s[4:5], 0xd4
	v_lshlrev_b32_e32 v0, 3, v0
	v_cmp_gt_i32_e64 s0, 32, v3
	v_lshl_add_u32 v0, v1, 8, v0
	v_cndmask_b32_e64 v3, v36, v3, s0
	v_cmp_gt_i32_e64 s0, 32, v6
	v_lshlrev_b32_e32 v3, 2, v3
	v_cndmask_b32_e64 v6, v36, v6, s0
	s_waitcnt lgkmcnt(0)
	ds_bpermute_b32 v5, v3, v2
	v_max_f32_e32 v2, v2, v2
	s_waitcnt lgkmcnt(0)
	v_max_f32_e32 v7, v5, v5
	v_lshlrev_b32_e32 v5, 2, v6
	v_max_f32_e32 v2, v2, v7
	v_xor_b32_e32 v7, 4, v36
	ds_bpermute_b32 v6, v5, v2
	v_cmp_gt_i32_e64 s0, 32, v7
	v_cndmask_b32_e64 v7, v36, v7, s0
	s_waitcnt lgkmcnt(0)
	v_max_f32_e32 v8, v6, v6
	v_lshlrev_b32_e32 v6, 2, v7
	v_max_f32_e32 v2, v2, v8
	v_xor_b32_e32 v8, 2, v36
	ds_bpermute_b32 v7, v6, v2
	v_cmp_gt_i32_e64 s0, 32, v8
	v_cndmask_b32_e64 v8, v36, v8, s0
	;; [unrolled: 8-line block ×3, first 2 shown]
	s_waitcnt lgkmcnt(0)
	v_max_f32_e32 v10, v8, v8
	v_lshlrev_b32_e32 v8, 2, v9
	v_max_f32_e32 v2, v2, v10
	ds_bpermute_b32 v9, v8, v2
	s_waitcnt lgkmcnt(0)
	v_max_f32_e32 v9, v9, v9
	v_max_f32_e32 v2, v2, v9
	v_sub_f32_e32 v9, v186, v2
	v_mul_f32_e32 v10, 0x3fb8aa3b, v9
	v_cmp_ngt_f32_e64 s0, 0xc2ce8ed0, v9
	v_fma_f32 v11, 0x3fb8aa3b, v9, -v10
	v_rndne_f32_e32 v12, v10
	v_fmamk_f32 v11, v9, 0x32a5705f, v11
	v_sub_f32_e32 v10, v10, v12
	v_add_f32_e32 v10, v10, v11
	v_cvt_i32_f32_e32 v11, v12
	v_mov_b32_e32 v12, 0x10001
	v_exp_f32_e32 v10, v10
	v_ldexp_f32 v10, v10, v11
	v_cndmask_b32_e64 v10, 0, v10, s0
	v_cmp_nlt_f32_e64 s0, 0x42b17218, v9
	v_cndmask_b32_e64 v11, 0x7f800000, v10, s0
	v_mul_f32_e32 v9, v41, v11
	ds_bpermute_b32 v9, v3, v9
	s_waitcnt lgkmcnt(0)
	v_fmac_f32_e32 v9, v41, v11
	v_cvt_f16_f32_e32 v11, v11
	ds_bpermute_b32 v10, v5, v9
	v_mul_u32_u24_sdwa v12, v11, v12 dst_sel:DWORD dst_unused:UNUSED_PAD src0_sel:WORD_0 src1_sel:DWORD
	v_pk_mul_f16 v11, v15, v12
	v_pk_mul_f16 v12, v14, v12
	ds_write_b64 v0, v[11:12]
	s_waitcnt lgkmcnt(1)
	v_add_f32_e32 v9, v9, v10
	ds_bpermute_b32 v10, v6, v9
	s_waitcnt lgkmcnt(0)
	v_add_f32_e32 v9, v9, v10
	ds_bpermute_b32 v10, v7, v9
	;; [unrolled: 3-line block ×3, first 2 shown]
	s_and_saveexec_b32 s0, vcc_lo
	s_cbranch_execz .LBB18_34
; %bb.33:
	s_waitcnt lgkmcnt(0)
	v_add_f32_e32 v0, v9, v10
	ds_write_b32 v4, v0 offset:1152
.LBB18_34:
	s_or_b32 exec_lo, exec_lo, s0
	s_waitcnt lgkmcnt(0)
	s_barrier
	buffer_gl0_inv
	ds_read_b32 v0, v40 offset:1152
	ds_read_u16 v1, v39 offset:768
	s_mul_i32 s0, s33, s28
	s_mov_b32 s3, 0
	s_add_i32 s0, s0, s6
	s_mul_i32 s0, s0, s29
	s_add_i32 s0, s0, s30
	s_mul_i32 s0, s1, s0
	s_add_i32 s2, s0, s7
	s_cmp_eq_u32 s1, 1
	s_waitcnt lgkmcnt(1)
	ds_bpermute_b32 v3, v3, v0
	s_waitcnt lgkmcnt(1)
	v_cvt_f32_f16_e32 v1, v1
	s_waitcnt lgkmcnt(0)
	v_add_f32_e32 v0, v0, v3
	ds_bpermute_b32 v3, v5, v0
	s_waitcnt lgkmcnt(0)
	v_add_f32_e32 v0, v0, v3
	ds_bpermute_b32 v3, v6, v0
	ds_read_u16 v4, v39
	ds_read_u16 v5, v39 offset:256
	ds_read_u16 v6, v39 offset:512
	s_waitcnt lgkmcnt(1)
	v_cvt_f32_f16_e32 v5, v5
	v_add_f32_e32 v0, v0, v3
	s_waitcnt lgkmcnt(0)
	v_cvt_f32_f16_e32 v6, v6
	ds_bpermute_b32 v3, v7, v0
	s_waitcnt lgkmcnt(0)
	v_add_f32_e32 v0, v0, v3
	v_cvt_f32_f16_e32 v3, v4
	ds_bpermute_b32 v4, v8, v0
	v_add_f32_e32 v3, 0, v3
	v_add_f32_e32 v3, v3, v5
	;; [unrolled: 1-line block ×4, first 2 shown]
	s_waitcnt lgkmcnt(0)
	v_add_f32_e32 v3, v0, v4
	v_div_scale_f32 v0, null, v3, v3, v6
	v_div_scale_f32 v5, vcc_lo, v6, v3, v6
	v_rcp_f32_e32 v4, v0
	v_fma_f32 v1, -v0, v4, 1.0
	v_fmac_f32_e32 v4, v1, v4
	v_mul_f32_e32 v7, v5, v4
	v_fma_f32 v1, -v0, v7, v5
	v_fmac_f32_e32 v7, v1, v4
	v_mov_b32_e32 v1, 0
	v_fma_f32 v5, -v0, v7, v5
	v_lshl_or_b32 v0, s2, 7, v38
	v_div_fmas_f32 v7, v5, v4, v7
	v_lshlrev_b64 v[4:5], 2, v[0:1]
	v_cmp_eq_u32_e32 vcc_lo, 0, v38
	v_div_fixup_f32 v0, v7, v3, v6
	v_add_co_u32 v4, s0, s20, v4
	v_add_co_ci_u32_e64 v5, null, s21, v5, s0
	s_cselect_b32 s0, -1, 0
	s_cmp_lg_u32 s1, 1
	v_cndmask_b32_e64 v0, v6, v0, s0
	s_cselect_b32 s0, -1, 0
	s_and_b32 s0, vcc_lo, s0
	global_store_dword v[4:5], v0, off
	s_and_saveexec_b32 s1, s0
	s_cbranch_execz .LBB18_36
; %bb.35:
	s_lshl_b64 s[0:1], s[2:3], 3
	s_add_u32 s0, s22, s0
	s_addc_u32 s1, s23, s1
	global_store_dwordx2 v1, v[2:3], s[0:1]
.LBB18_36:
	s_endpgm
	.section	.rodata,"a",@progbits
	.p2align	6, 0x0
	.amdhsa_kernel _ZL18flash_attn_ext_vecILi128ELi1EL9ggml_type2ELS0_2ELb1EEvPKcS2_S2_S2_S2_PKiPfP15HIP_vector_typeIfLj2EEffffjfiS6_IjLj3EEiiiiiiiiiiiliiliiiiil
		.amdhsa_group_segment_fixed_size 1280
		.amdhsa_private_segment_fixed_size 0
		.amdhsa_kernarg_size 464
		.amdhsa_user_sgpr_count 6
		.amdhsa_user_sgpr_private_segment_buffer 1
		.amdhsa_user_sgpr_dispatch_ptr 0
		.amdhsa_user_sgpr_queue_ptr 0
		.amdhsa_user_sgpr_kernarg_segment_ptr 1
		.amdhsa_user_sgpr_dispatch_id 0
		.amdhsa_user_sgpr_flat_scratch_init 0
		.amdhsa_user_sgpr_private_segment_size 0
		.amdhsa_wavefront_size32 1
		.amdhsa_uses_dynamic_stack 0
		.amdhsa_system_sgpr_private_segment_wavefront_offset 0
		.amdhsa_system_sgpr_workgroup_id_x 1
		.amdhsa_system_sgpr_workgroup_id_y 1
		.amdhsa_system_sgpr_workgroup_id_z 1
		.amdhsa_system_sgpr_workgroup_info 0
		.amdhsa_system_vgpr_workitem_id 1
		.amdhsa_next_free_vgpr 252
		.amdhsa_next_free_sgpr 51
		.amdhsa_reserve_vcc 1
		.amdhsa_reserve_flat_scratch 0
		.amdhsa_float_round_mode_32 0
		.amdhsa_float_round_mode_16_64 0
		.amdhsa_float_denorm_mode_32 3
		.amdhsa_float_denorm_mode_16_64 3
		.amdhsa_dx10_clamp 1
		.amdhsa_ieee_mode 1
		.amdhsa_fp16_overflow 0
		.amdhsa_workgroup_processor_mode 1
		.amdhsa_memory_ordered 1
		.amdhsa_forward_progress 1
		.amdhsa_shared_vgpr_count 0
		.amdhsa_exception_fp_ieee_invalid_op 0
		.amdhsa_exception_fp_denorm_src 0
		.amdhsa_exception_fp_ieee_div_zero 0
		.amdhsa_exception_fp_ieee_overflow 0
		.amdhsa_exception_fp_ieee_underflow 0
		.amdhsa_exception_fp_ieee_inexact 0
		.amdhsa_exception_int_div_zero 0
	.end_amdhsa_kernel
	.section	.text._ZL18flash_attn_ext_vecILi128ELi1EL9ggml_type2ELS0_2ELb1EEvPKcS2_S2_S2_S2_PKiPfP15HIP_vector_typeIfLj2EEffffjfiS6_IjLj3EEiiiiiiiiiiiliiliiiiil,"axG",@progbits,_ZL18flash_attn_ext_vecILi128ELi1EL9ggml_type2ELS0_2ELb1EEvPKcS2_S2_S2_S2_PKiPfP15HIP_vector_typeIfLj2EEffffjfiS6_IjLj3EEiiiiiiiiiiiliiliiiiil,comdat
.Lfunc_end18:
	.size	_ZL18flash_attn_ext_vecILi128ELi1EL9ggml_type2ELS0_2ELb1EEvPKcS2_S2_S2_S2_PKiPfP15HIP_vector_typeIfLj2EEffffjfiS6_IjLj3EEiiiiiiiiiiiliiliiiiil, .Lfunc_end18-_ZL18flash_attn_ext_vecILi128ELi1EL9ggml_type2ELS0_2ELb1EEvPKcS2_S2_S2_S2_PKiPfP15HIP_vector_typeIfLj2EEffffjfiS6_IjLj3EEiiiiiiiiiiiliiliiiiil
                                        ; -- End function
	.set _ZL18flash_attn_ext_vecILi128ELi1EL9ggml_type2ELS0_2ELb1EEvPKcS2_S2_S2_S2_PKiPfP15HIP_vector_typeIfLj2EEffffjfiS6_IjLj3EEiiiiiiiiiiiliiliiiiil.num_vgpr, 252
	.set _ZL18flash_attn_ext_vecILi128ELi1EL9ggml_type2ELS0_2ELb1EEvPKcS2_S2_S2_S2_PKiPfP15HIP_vector_typeIfLj2EEffffjfiS6_IjLj3EEiiiiiiiiiiiliiliiiiil.num_agpr, 0
	.set _ZL18flash_attn_ext_vecILi128ELi1EL9ggml_type2ELS0_2ELb1EEvPKcS2_S2_S2_S2_PKiPfP15HIP_vector_typeIfLj2EEffffjfiS6_IjLj3EEiiiiiiiiiiiliiliiiiil.numbered_sgpr, 51
	.set _ZL18flash_attn_ext_vecILi128ELi1EL9ggml_type2ELS0_2ELb1EEvPKcS2_S2_S2_S2_PKiPfP15HIP_vector_typeIfLj2EEffffjfiS6_IjLj3EEiiiiiiiiiiiliiliiiiil.num_named_barrier, 0
	.set _ZL18flash_attn_ext_vecILi128ELi1EL9ggml_type2ELS0_2ELb1EEvPKcS2_S2_S2_S2_PKiPfP15HIP_vector_typeIfLj2EEffffjfiS6_IjLj3EEiiiiiiiiiiiliiliiiiil.private_seg_size, 0
	.set _ZL18flash_attn_ext_vecILi128ELi1EL9ggml_type2ELS0_2ELb1EEvPKcS2_S2_S2_S2_PKiPfP15HIP_vector_typeIfLj2EEffffjfiS6_IjLj3EEiiiiiiiiiiiliiliiiiil.uses_vcc, 1
	.set _ZL18flash_attn_ext_vecILi128ELi1EL9ggml_type2ELS0_2ELb1EEvPKcS2_S2_S2_S2_PKiPfP15HIP_vector_typeIfLj2EEffffjfiS6_IjLj3EEiiiiiiiiiiiliiliiiiil.uses_flat_scratch, 0
	.set _ZL18flash_attn_ext_vecILi128ELi1EL9ggml_type2ELS0_2ELb1EEvPKcS2_S2_S2_S2_PKiPfP15HIP_vector_typeIfLj2EEffffjfiS6_IjLj3EEiiiiiiiiiiiliiliiiiil.has_dyn_sized_stack, 0
	.set _ZL18flash_attn_ext_vecILi128ELi1EL9ggml_type2ELS0_2ELb1EEvPKcS2_S2_S2_S2_PKiPfP15HIP_vector_typeIfLj2EEffffjfiS6_IjLj3EEiiiiiiiiiiiliiliiiiil.has_recursion, 0
	.set _ZL18flash_attn_ext_vecILi128ELi1EL9ggml_type2ELS0_2ELb1EEvPKcS2_S2_S2_S2_PKiPfP15HIP_vector_typeIfLj2EEffffjfiS6_IjLj3EEiiiiiiiiiiiliiliiiiil.has_indirect_call, 0
	.section	.AMDGPU.csdata,"",@progbits
; Kernel info:
; codeLenInByte = 19728
; TotalNumSgprs: 53
; NumVgprs: 252
; ScratchSize: 0
; MemoryBound: 0
; FloatMode: 240
; IeeeMode: 1
; LDSByteSize: 1280 bytes/workgroup (compile time only)
; SGPRBlocks: 0
; VGPRBlocks: 31
; NumSGPRsForWavesPerEU: 53
; NumVGPRsForWavesPerEU: 252
; Occupancy: 4
; WaveLimiterHint : 0
; COMPUTE_PGM_RSRC2:SCRATCH_EN: 0
; COMPUTE_PGM_RSRC2:USER_SGPR: 6
; COMPUTE_PGM_RSRC2:TRAP_HANDLER: 0
; COMPUTE_PGM_RSRC2:TGID_X_EN: 1
; COMPUTE_PGM_RSRC2:TGID_Y_EN: 1
; COMPUTE_PGM_RSRC2:TGID_Z_EN: 1
; COMPUTE_PGM_RSRC2:TIDIG_COMP_CNT: 1
	.section	.text._ZL18flash_attn_ext_vecILi128ELi2EL9ggml_type2ELS0_2ELb0EEvPKcS2_S2_S2_S2_PKiPfP15HIP_vector_typeIfLj2EEffffjfiS6_IjLj3EEiiiiiiiiiiiliiliiiiil,"axG",@progbits,_ZL18flash_attn_ext_vecILi128ELi2EL9ggml_type2ELS0_2ELb0EEvPKcS2_S2_S2_S2_PKiPfP15HIP_vector_typeIfLj2EEffffjfiS6_IjLj3EEiiiiiiiiiiiliiliiiiil,comdat
	.globl	_ZL18flash_attn_ext_vecILi128ELi2EL9ggml_type2ELS0_2ELb0EEvPKcS2_S2_S2_S2_PKiPfP15HIP_vector_typeIfLj2EEffffjfiS6_IjLj3EEiiiiiiiiiiiliiliiiiil ; -- Begin function _ZL18flash_attn_ext_vecILi128ELi2EL9ggml_type2ELS0_2ELb0EEvPKcS2_S2_S2_S2_PKiPfP15HIP_vector_typeIfLj2EEffffjfiS6_IjLj3EEiiiiiiiiiiiliiliiiiil
	.p2align	8
	.type	_ZL18flash_attn_ext_vecILi128ELi2EL9ggml_type2ELS0_2ELb0EEvPKcS2_S2_S2_S2_PKiPfP15HIP_vector_typeIfLj2EEffffjfiS6_IjLj3EEiiiiiiiiiiiliiliiiiil,@function
_ZL18flash_attn_ext_vecILi128ELi2EL9ggml_type2ELS0_2ELb0EEvPKcS2_S2_S2_S2_PKiPfP15HIP_vector_typeIfLj2EEffffjfiS6_IjLj3EEiiiiiiiiiiiliiliiiiil: ; @_ZL18flash_attn_ext_vecILi128ELi2EL9ggml_type2ELS0_2ELb0EEvPKcS2_S2_S2_S2_PKiPfP15HIP_vector_typeIfLj2EEffffjfiS6_IjLj3EEiiiiiiiiiiiliiliiiiil
; %bb.0:
	s_clause 0x2
	s_load_dwordx2 s[36:37], s[6:7], 0x64
	s_load_dwordx2 s[40:41], s[6:7], 0x80
	;; [unrolled: 1-line block ×3, first 2 shown]
	s_mov_b32 s34, s9
	s_load_dwordx4 s[28:31], s[6:7], 0x40
	v_mov_b32_e32 v77, 1.0
	s_waitcnt lgkmcnt(0)
	v_cvt_f32_u32_e32 v3, s37
	s_sub_i32 s1, 0, s37
	v_rcp_iflag_f32_e32 v3, v3
	v_mul_f32_e32 v3, 0x4f7ffffe, v3
	v_cvt_u32_f32_e32 v3, v3
	v_readfirstlane_b32 s0, v3
	s_mul_i32 s1, s1, s0
	s_mul_hi_u32 s1, s0, s1
	s_add_i32 s0, s0, s1
	s_mul_hi_u32 s0, s10, s0
	s_mul_i32 s1, s0, s37
	s_add_i32 s2, s0, 1
	s_sub_i32 s1, s10, s1
	s_sub_i32 s3, s1, s37
	s_cmp_ge_u32 s1, s37
	s_cselect_b32 s0, s2, s0
	s_cselect_b32 s1, s3, s1
	s_add_i32 s2, s0, 1
	s_cmp_ge_u32 s1, s37
	s_cselect_b32 s33, s2, s0
	s_abs_i32 s0, s41
	s_abs_i32 s9, s37
	v_cvt_f32_u32_e32 v3, s0
	s_sub_i32 s2, 0, s0
	s_xor_b32 s3, s37, s41
	s_ashr_i32 s3, s3, 31
	v_rcp_iflag_f32_e32 v3, v3
	v_mul_f32_e32 v3, 0x4f7ffffe, v3
	v_cvt_u32_f32_e32 v3, v3
	v_readfirstlane_b32 s1, v3
	s_mul_i32 s2, s2, s1
	s_mul_hi_u32 s2, s1, s2
	s_add_i32 s1, s1, s2
	s_mul_i32 s2, s33, s37
	s_mul_hi_u32 s1, s9, s1
	s_sub_i32 s38, s10, s2
	s_mul_i32 s11, s1, s0
	s_sub_i32 s2, s9, s11
	s_add_i32 s9, s1, 1
	s_sub_i32 s10, s2, s0
	s_cmp_ge_u32 s2, s0
	s_cselect_b32 s1, s9, s1
	s_cselect_b32 s2, s10, s2
	s_add_i32 s9, s1, 1
	s_cmp_ge_u32 s2, s0
	s_cselect_b32 s0, s9, s1
	s_abs_i32 s35, s42
	s_xor_b32 s0, s0, s3
	v_cvt_f32_u32_e32 v3, s35
	s_sub_i32 s41, s0, s3
	s_load_dword s0, s[6:7], 0x50
	s_abs_i32 s39, s41
	v_cmp_le_f32_e64 s1, s29, 0
	v_cvt_f32_u32_e32 v4, s39
	v_rcp_iflag_f32_e32 v3, v3
	s_and_b32 vcc_lo, exec_lo, s1
	v_rcp_iflag_f32_e32 v4, v4
	v_mul_f32_e32 v3, 0x4f7ffffe, v3
	v_mul_f32_e32 v4, 0x4f7ffffe, v4
	v_cvt_u32_f32_e32 v3, v3
	v_cvt_u32_f32_e32 v4, v4
	v_readfirstlane_b32 s29, v3
	v_readfirstlane_b32 s42, v4
	s_cbranch_vccnz .LBB19_2
; %bb.1:
	s_waitcnt lgkmcnt(0)
	v_sub_co_u32 v4, vcc_lo, s38, s0
	v_mov_b32_e32 v3, s30
	s_add_i32 s0, s38, 1
	v_lshlrev_b32_e32 v4, 1, v4
	v_cndmask_b32_e32 v3, s31, v3, vcc_lo
	v_or_b32_e32 v4, 1, v4
	v_cndmask_b32_e64 v4, v4, s0, vcc_lo
	v_cmp_neq_f32_e32 vcc_lo, 1.0, v3
	s_mov_b32 s0, 0x3e76c4e1
	v_cvt_f32_i32_e32 v4, v4
	v_cndmask_b32_e32 v5, 1.0, v4, vcc_lo
	v_cmp_neq_f32_e32 vcc_lo, 0, v5
	v_cndmask_b32_e32 v6, 1.0, v3, vcc_lo
	v_frexp_mant_f32_e64 v3, |v6|
	v_cmp_eq_f32_e64 s2, 0, v6
	v_cmp_gt_f32_e32 vcc_lo, 0x3f2aaaab, v3
	v_cndmask_b32_e64 v4, 1.0, 2.0, vcc_lo
	v_mul_f32_e32 v3, v3, v4
	v_add_f32_e32 v4, 1.0, v3
	v_add_f32_e32 v8, -1.0, v3
	v_rcp_f32_e32 v7, v4
	v_add_f32_e32 v10, -1.0, v4
	v_sub_f32_e32 v3, v3, v10
	v_mul_f32_e32 v9, v8, v7
	v_mul_f32_e32 v11, v4, v9
	v_fma_f32 v4, v9, v4, -v11
	v_fmac_f32_e32 v4, v9, v3
	v_add_f32_e32 v3, v11, v4
	v_sub_f32_e32 v10, v8, v3
	v_sub_f32_e32 v11, v3, v11
	;; [unrolled: 1-line block ×5, first 2 shown]
	v_add_f32_e32 v3, v4, v3
	v_add_f32_e32 v3, v10, v3
	v_mul_f32_e32 v3, v7, v3
	v_add_f32_e32 v7, v9, v3
	v_sub_f32_e32 v4, v7, v9
	v_mul_f32_e32 v8, v7, v7
	v_sub_f32_e32 v9, v3, v4
	v_fma_f32 v3, v7, v7, -v8
	v_add_f32_e32 v4, v9, v9
	v_fmac_f32_e32 v3, v7, v4
	v_add_f32_e32 v10, v8, v3
	v_fmaak_f32 v4, s0, v10, 0x3e91f4c4
	v_sub_f32_e32 v8, v10, v8
	v_mul_f32_e32 v15, v7, v10
	v_fmaak_f32 v4, v10, v4, 0x3ecccdef
	v_sub_f32_e32 v8, v3, v8
	v_fma_f32 v16, v10, v7, -v15
	v_mul_f32_e32 v11, v10, v4
	v_fmac_f32_e32 v16, v10, v9
	v_ldexp_f32 v9, v9, 1
	v_fma_f32 v12, v10, v4, -v11
	v_fmac_f32_e32 v16, v8, v7
	v_fmac_f32_e32 v12, v8, v4
	v_cvt_f64_f32_e64 v[3:4], |v6|
	v_add_f32_e32 v13, v11, v12
	v_sub_f32_e32 v11, v13, v11
	v_add_f32_e32 v14, 0x3f2aaaaa, v13
	v_sub_f32_e32 v11, v12, v11
	v_add_f32_e32 v12, 0xbf2aaaaa, v14
	v_add_f32_e32 v11, 0x31739010, v11
	v_sub_f32_e32 v12, v13, v12
	v_frexp_exp_i32_f64_e32 v3, v[3:4]
	v_add_f32_e32 v10, v11, v12
	v_add_f32_e32 v11, v15, v16
	;; [unrolled: 1-line block ×3, first 2 shown]
	v_sub_f32_e32 v13, v11, v15
	v_sub_f32_e32 v4, v14, v8
	v_mul_f32_e32 v12, v11, v8
	v_sub_f32_e32 v13, v16, v13
	v_add_f32_e32 v4, v10, v4
	v_fma_f32 v10, v11, v8, -v12
	v_subrev_co_ci_u32_e64 v3, null, 0, v3, vcc_lo
	v_fmac_f32_e32 v10, v11, v4
	v_ldexp_f32 v4, v7, 1
	v_cvt_f32_i32_e32 v3, v3
	v_fmac_f32_e32 v10, v13, v8
	v_add_f32_e32 v7, v12, v10
	v_add_f32_e32 v8, v4, v7
	v_sub_f32_e32 v11, v7, v12
	v_mul_f32_e32 v12, 0x3f317218, v3
	v_sub_f32_e32 v4, v8, v4
	v_sub_f32_e32 v10, v10, v11
	v_fma_f32 v11, 0x3f317218, v3, -v12
	v_sub_f32_e32 v4, v7, v4
	v_add_f32_e32 v7, v9, v10
	v_fmamk_f32 v3, v3, 0xb102e308, v11
	v_add_f32_e32 v4, v7, v4
	v_add_f32_e32 v7, v12, v3
	v_add_f32_e32 v9, v8, v4
	v_sub_f32_e32 v12, v7, v12
	v_add_f32_e32 v10, v7, v9
	v_sub_f32_e32 v8, v9, v8
	v_sub_f32_e32 v3, v3, v12
	;; [unrolled: 1-line block ×6, first 2 shown]
	v_add_f32_e32 v9, v3, v4
	v_sub_f32_e32 v7, v7, v13
	v_add_f32_e32 v7, v8, v7
	v_sub_f32_e32 v8, v9, v3
	;; [unrolled: 2-line block ×3, first 2 shown]
	v_sub_f32_e32 v4, v4, v8
	v_add_f32_e32 v11, v10, v7
	v_sub_f32_e32 v3, v3, v9
	v_sub_f32_e32 v8, v11, v10
	v_add_f32_e32 v3, v4, v3
	v_sub_f32_e32 v4, v7, v8
	v_add_f32_e32 v3, v3, v4
	v_add_f32_e32 v4, v11, v3
	v_sub_f32_e32 v7, v4, v11
	v_mul_f32_e32 v8, v5, v4
	v_sub_f32_e32 v3, v3, v7
	v_fma_f32 v4, v5, v4, -v8
	v_cmp_class_f32_e64 vcc_lo, v8, 0x204
	v_fmac_f32_e32 v4, v5, v3
	v_add_f32_e32 v3, v8, v4
	v_cndmask_b32_e32 v7, v3, v8, vcc_lo
	v_sub_f32_e32 v3, v3, v8
	v_cmp_eq_f32_e32 vcc_lo, 0x42b17218, v7
	v_sub_f32_e32 v3, v4, v3
	v_cndmask_b32_e64 v9, 0, 0x37000000, vcc_lo
	v_cmp_neq_f32_e64 vcc_lo, 0x7f800000, |v7|
	v_sub_f32_e32 v10, v7, v9
	v_cndmask_b32_e32 v3, 0, v3, vcc_lo
	v_trunc_f32_e32 v7, v5
	v_mul_f32_e32 v11, 0x3fb8aa3b, v10
	v_cmp_ngt_f32_e32 vcc_lo, 0xc2ce8ed0, v10
	v_add_f32_e32 v3, v9, v3
	v_fma_f32 v12, 0x3fb8aa3b, v10, -v11
	v_rndne_f32_e32 v13, v11
	v_fmamk_f32 v12, v10, 0x32a5705f, v12
	v_sub_f32_e32 v11, v11, v13
	v_cvt_i32_f32_e32 v8, v13
	v_add_f32_e32 v11, v11, v12
	v_exp_f32_e32 v11, v11
	v_ldexp_f32 v4, v11, v8
	v_mul_f32_e32 v8, 0.5, v5
	v_cndmask_b32_e32 v4, 0, v4, vcc_lo
	v_cmp_nlt_f32_e32 vcc_lo, 0x42b17218, v10
	v_trunc_f32_e32 v11, v8
	v_cndmask_b32_e32 v4, 0x7f800000, v4, vcc_lo
	v_cmp_eq_f32_e32 vcc_lo, v7, v5
	v_cmp_neq_f32_e64 s0, v11, v8
	v_fma_f32 v3, v4, v3, v4
	v_cmp_class_f32_e64 s1, v4, 0x204
	s_and_b32 s0, vcc_lo, s0
	v_cndmask_b32_e64 v7, 1.0, v6, s0
	v_cndmask_b32_e64 v3, v3, v4, s1
	v_cmp_gt_f32_e64 s1, 0, v5
	v_bfi_b32 v3, 0x7fffffff, v3, v7
	s_xor_b32 s1, s1, s2
	v_cndmask_b32_e64 v7, 0, v6, s0
	v_cndmask_b32_e64 v4, 0x7f800000, 0, s1
	v_cmp_class_f32_e64 s0, v6, 0x204
	v_cndmask_b32_e32 v5, 0x7fc00000, v3, vcc_lo
	v_cmp_gt_f32_e32 vcc_lo, 0, v6
	v_bfi_b32 v4, 0x7fffffff, v4, v7
	v_cndmask_b32_e32 v3, v3, v5, vcc_lo
	s_or_b32 vcc_lo, s2, s0
	v_cndmask_b32_e32 v3, v3, v4, vcc_lo
	v_cmp_o_f32_e32 vcc_lo, v6, v6
	v_cndmask_b32_e32 v77, 0x7fc00000, v3, vcc_lo
.LBB19_2:
	s_waitcnt lgkmcnt(0)
	s_load_dwordx2 s[0:1], s[4:5], 0x4
	s_load_dwordx16 s[12:27], s[6:7], 0x0
	v_mov_b32_e32 v14, 0
	v_lshlrev_b32_e32 v72, 8, v1
	v_lshlrev_b32_e32 v74, 2, v0
	s_lshl_b32 s30, s8, 1
	s_mov_b32 s4, exec_lo
	s_waitcnt lgkmcnt(0)
	v_mul_u32_u24_e32 v3, s1, v1
	s_lshr_b32 s0, s0, 16
	s_mul_i32 s0, s0, s1
	v_mad_u32_u24 v3, s0, v0, v3
	v_cmp_lt_u32_e64 s0, 1, v1
	v_add_lshl_u32 v20, v3, v2, 4
	v_add_nc_u32_e32 v2, 0x604, v20
	v_add_nc_u32_e32 v3, 0x400, v20
	ds_write2_b32 v2, v14, v14 offset1:1
	ds_write2_b32 v3, v14, v14 offset0:128 offset1:131
	v_cmpx_gt_u32_e32 2, v1
	s_cbranch_execz .LBB19_13
; %bb.3:
	v_or_b32_e32 v2, s30, v1
	v_add_nc_u32_e32 v3, v72, v74
	s_mov_b32 s1, exec_lo
	v_cmpx_le_i32_e64 s36, v2
	s_xor_b32 s1, exec_lo, s1
	s_cbranch_execz .LBB19_7
; %bb.4:
	v_mov_b32_e32 v2, 0
	s_mov_b32 s2, exec_lo
	ds_write_b32 v3, v2
	v_cmpx_gt_u32_e32 4, v0
; %bb.5:
	v_add_nc_u32_e32 v4, v3, v74
	v_mov_b32_e32 v3, v2
	ds_write_b64 v4, v[2:3] offset:128
; %bb.6:
	s_or_b32 exec_lo, exec_lo, s2
                                        ; implicit-def: $vgpr3
.LBB19_7:
	s_andn2_saveexec_b32 s1, s1
	s_cbranch_execz .LBB19_13
; %bb.8:
	s_load_dwordx4 s[44:47], s[6:7], 0x70
	v_lshlrev_b32_e32 v4, 2, v74
	s_mov_b32 s5, exec_lo
	s_waitcnt lgkmcnt(0)
	v_mul_lo_u32 v2, s44, v1
	s_mul_i32 s1, s33, s46
	s_mul_i32 s2, s44, s30
	;; [unrolled: 1-line block ×3, first 2 shown]
	s_add_i32 s1, s1, s2
	s_add_i32 s1, s1, s3
	s_ashr_i32 s2, s1, 31
	v_ashrrev_i32_e32 v5, 31, v2
	s_add_u32 s1, s12, s1
	s_addc_u32 s2, s13, s2
	v_add_co_u32 v2, vcc_lo, s1, v2
	v_add_co_ci_u32_e64 v5, null, s2, v5, vcc_lo
	v_add_co_u32 v4, vcc_lo, v2, v4
	v_add_co_ci_u32_e64 v5, null, 0, v5, vcc_lo
	v_mbcnt_lo_u32_b32 v2, -1, 0
	global_load_dwordx4 v[10:13], v[4:5], off
	v_xor_b32_e32 v5, 4, v2
	v_xor_b32_e32 v15, 2, v2
	;; [unrolled: 1-line block ×3, first 2 shown]
	v_cmp_gt_i32_e32 vcc_lo, 32, v5
	v_cndmask_b32_e32 v5, v2, v5, vcc_lo
	v_cmp_gt_i32_e32 vcc_lo, 32, v15
	v_lshlrev_b32_e32 v5, 2, v5
	v_cndmask_b32_e32 v15, v2, v15, vcc_lo
	v_cmp_gt_i32_e32 vcc_lo, 32, v16
	v_lshlrev_b32_e32 v15, 2, v15
	v_cndmask_b32_e32 v2, v2, v16, vcc_lo
	v_lshlrev_b32_e32 v2, 2, v2
	s_waitcnt vmcnt(0)
	v_mul_f32_e32 v4, s28, v10
	v_mul_f32_e32 v6, s28, v11
	;; [unrolled: 1-line block ×4, first 2 shown]
	v_max_f32_e64 v7, |v4|, |v6|
	v_fma_f32 v10, s28, v10, v6
	v_max3_f32 v7, v7, |v9|, |v8|
	v_fmac_f32_e32 v10, s28, v12
	ds_bpermute_b32 v11, v5, v7
	v_fmac_f32_e32 v10, s28, v13
	ds_bpermute_b32 v5, v5, v10
	s_waitcnt lgkmcnt(1)
	v_max_f32_e32 v11, v11, v11
	v_max_f32_e32 v7, v7, v11
	s_waitcnt lgkmcnt(0)
	v_add_f32_e32 v5, v10, v5
	ds_bpermute_b32 v11, v15, v7
	ds_bpermute_b32 v10, v15, v5
	s_waitcnt lgkmcnt(1)
	v_max_f32_e32 v11, v11, v11
	s_waitcnt lgkmcnt(0)
	v_add_f32_e32 v5, v5, v10
	v_mov_b32_e32 v10, 0
	v_max_f32_e32 v7, v7, v11
	ds_bpermute_b32 v11, v2, v7
	s_waitcnt lgkmcnt(0)
	v_max_f32_e32 v11, v11, v11
	v_max_f32_e32 v11, v7, v11
	v_div_scale_f32 v12, null, 0x42fe0000, 0x42fe0000, v11
	v_div_scale_f32 v15, vcc_lo, v11, 0x42fe0000, v11
	v_rcp_f32_e32 v13, v12
	v_fma_f32 v7, -v12, v13, 1.0
	v_fmac_f32_e32 v13, v7, v13
	v_mul_f32_e32 v16, v15, v13
	v_fma_f32 v7, -v12, v16, v15
	v_fmac_f32_e32 v16, v7, v13
	ds_bpermute_b32 v7, v2, v5
	v_fma_f32 v2, -v12, v16, v15
	v_div_fmas_f32 v2, v2, v13, v16
	v_div_fixup_f32 v2, v2, 0x42fe0000, v11
	v_cmpx_neq_f32_e32 0, v2
	s_cbranch_execz .LBB19_10
; %bb.9:
	v_div_scale_f32 v10, null, v2, v2, v4
	v_div_scale_f32 v11, null, v2, v2, v6
	;; [unrolled: 1-line block ×3, first 2 shown]
	v_rcp_f32_e32 v12, v10
	v_div_scale_f32 v15, null, v2, v2, v8
	v_rcp_f32_e32 v16, v11
	v_rcp_f32_e32 v17, v13
	v_div_scale_f32 v22, vcc_lo, v4, v2, v4
	v_rcp_f32_e32 v18, v15
	v_fma_f32 v19, -v10, v12, 1.0
	v_fma_f32 v21, -v11, v16, 1.0
	;; [unrolled: 1-line block ×3, first 2 shown]
	v_fmac_f32_e32 v12, v19, v12
	v_div_scale_f32 v19, s1, v6, v2, v6
	v_fma_f32 v24, -v15, v18, 1.0
	v_fmac_f32_e32 v16, v21, v16
	v_fmac_f32_e32 v17, v23, v17
	v_div_scale_f32 v21, s2, v9, v2, v9
	v_fmac_f32_e32 v18, v24, v18
	v_mul_f32_e32 v24, v22, v12
	v_mul_f32_e32 v25, v19, v16
	;; [unrolled: 1-line block ×3, first 2 shown]
	v_div_scale_f32 v23, s3, v8, v2, v8
	v_fma_f32 v28, -v10, v24, v22
	v_fma_f32 v29, -v11, v25, v19
	;; [unrolled: 1-line block ×3, first 2 shown]
	v_mul_f32_e32 v27, v23, v18
	v_fmac_f32_e32 v24, v28, v12
	v_fmac_f32_e32 v25, v29, v16
	v_fmac_f32_e32 v26, v30, v17
	v_fma_f32 v31, -v15, v27, v23
	v_fma_f32 v10, -v10, v24, v22
	;; [unrolled: 1-line block ×4, first 2 shown]
	v_fmac_f32_e32 v27, v31, v18
	v_div_fmas_f32 v10, v10, v12, v24
	s_mov_b32 vcc_lo, s1
	v_div_fmas_f32 v11, v11, v16, v25
	s_mov_b32 vcc_lo, s2
	v_div_fixup_f32 v4, v10, v2, v4
	v_div_fmas_f32 v12, v13, v17, v26
	v_fma_f32 v13, -v15, v27, v23
	s_mov_b32 vcc_lo, s3
	v_div_fixup_f32 v6, v11, v2, v6
	v_div_fixup_f32 v9, v12, v2, v9
	v_div_fmas_f32 v12, v13, v18, v27
	v_trunc_f32_e32 v11, v6
	v_trunc_f32_e32 v13, v9
	v_div_fixup_f32 v8, v12, v2, v8
	v_trunc_f32_e32 v12, v4
	v_sub_f32_e32 v16, v6, v11
	v_sub_f32_e32 v10, v9, v13
	v_trunc_f32_e32 v15, v8
	v_sub_f32_e32 v18, v4, v12
	v_cmp_ge_f32_e64 s1, |v10|, 0.5
	v_sub_f32_e32 v17, v8, v15
	v_cndmask_b32_e64 v10, 0, 1.0, s1
	v_cmp_ge_f32_e64 s1, |v16|, 0.5
	v_bfi_b32 v9, 0x7fffffff, v10, v9
	v_cndmask_b32_e64 v10, 0, 1.0, s1
	v_cmp_ge_f32_e64 s1, |v17|, 0.5
	v_add_f32_e32 v9, v13, v9
	v_bfi_b32 v6, 0x7fffffff, v10, v6
	v_cndmask_b32_e64 v16, 0, 1.0, s1
	v_cmp_ge_f32_e64 s1, |v18|, 0.5
	v_mov_b32_e32 v10, 8
	v_cvt_i32_f32_e32 v9, v9
	v_add_f32_e32 v6, v11, v6
	v_bfi_b32 v8, 0x7fffffff, v16, v8
	v_cndmask_b32_e64 v13, 0, 1.0, s1
	v_and_b32_e32 v9, 0xff, v9
	v_cvt_i32_f32_e32 v6, v6
	v_add_f32_e32 v8, v15, v8
	v_bfi_b32 v4, 0x7fffffff, v13, v4
	v_lshlrev_b32_e32 v9, 16, v9
	v_lshlrev_b32_sdwa v6, v10, v6 dst_sel:DWORD dst_unused:UNUSED_PAD src0_sel:DWORD src1_sel:BYTE_0
	v_cvt_i32_f32_e32 v8, v8
	v_add_f32_e32 v4, v12, v4
	v_lshl_or_b32 v8, v8, 24, v9
	v_cvt_i32_f32_e32 v4, v4
	v_and_b32_e32 v4, 0xff, v4
	v_or3_b32 v10, v8, v6, v4
.LBB19_10:
	s_or_b32 exec_lo, exec_lo, s5
	v_and_b32_e32 v4, 7, v0
	s_mov_b32 s1, exec_lo
	ds_write_b32 v3, v10
	v_cmpx_eq_u32_e32 0, v4
	s_cbranch_execz .LBB19_12
; %bb.11:
	s_waitcnt lgkmcnt(1)
	v_add_f32_e32 v3, v5, v7
	v_add_nc_u32_e32 v4, v72, v0
	ds_write_b64 v4, v[2:3] offset:128
.LBB19_12:
	s_or_b32 exec_lo, exec_lo, s1
.LBB19_13:
	s_or_b32 exec_lo, exec_lo, s4
	v_and_b32_e32 v21, 1, v0
	s_waitcnt lgkmcnt(0)
	s_barrier
	buffer_gl0_inv
	s_cmp_eq_u64 s[22:23], 0
	v_lshlrev_b32_e32 v18, 2, v21
	s_mov_b32 s31, s40
	ds_read_b128 v[2:5], v14 offset:128
	ds_read_b128 v[6:9], v14 offset:144
	ds_read2_b32 v[38:39], v18 offset1:2
	ds_read2_b32 v[40:41], v18 offset0:4 offset1:6
	ds_read2_b32 v[42:43], v18 offset0:8 offset1:10
	;; [unrolled: 1-line block ×12, first 2 shown]
	ds_read_b128 v[10:13], v14 offset:384
	ds_read_b128 v[14:17], v14 offset:400
	ds_read2_b32 v[64:65], v18 offset0:84 offset1:86
	ds_read2_b32 v[66:67], v18 offset0:88 offset1:90
	;; [unrolled: 1-line block ×3, first 2 shown]
	s_waitcnt lgkmcnt(0)
	s_barrier
	buffer_gl0_inv
	s_cbranch_scc1 .LBB19_15
; %bb.14:
	s_load_dword s1, s[6:7], 0xd0
	s_mov_b32 s3, 0
	s_waitcnt lgkmcnt(0)
	s_mul_i32 s1, s1, s33
	s_add_i32 s2, s1, s8
	s_lshl_b64 s[2:3], s[2:3], 2
	s_add_u32 s2, s22, s2
	s_addc_u32 s3, s23, s3
	s_load_dword s31, s[2:3], 0x0
.LBB19_15:
	v_lshlrev_b32_e32 v19, 5, v1
	v_add_nc_u32_e32 v76, 0x600, v20
	v_mbcnt_lo_u32_b32 v78, -1, 0
	s_lshl_b32 s2, s34, 7
	s_mov_b32 s3, 0
	v_add_nc_u32_e32 v73, v19, v0
	s_waitcnt lgkmcnt(0)
	s_cmp_ge_i32 s2, s31
	v_lshlrev_b32_e32 v75, 1, v73
	s_cbranch_scc1 .LBB19_27
; %bb.16:
	s_clause 0x1
	s_load_dwordx4 s[8:11], s[6:7], 0x98
	s_load_dwordx2 s[12:13], s[6:7], 0x8c
	s_sub_i32 s1, 0, s39
	s_sub_i32 s4, 0, s35
	s_mul_i32 s1, s1, s42
	s_abs_i32 s22, s38
	s_mul_hi_u32 s1, s42, s1
	s_mul_i32 s4, s4, s29
	s_add_i32 s42, s42, s1
	s_ashr_i32 s23, s38, 31
	s_ashr_i32 s41, s41, 31
	s_ashr_i32 s5, s33, 31
	s_mul_hi_u32 s1, s29, s4
	s_mul_hi_u32 s4, s22, s42
	s_xor_b32 s44, s23, s41
	s_add_i32 s29, s29, s1
	s_mul_i32 s1, s4, s39
	s_abs_i32 s28, s33
	s_sub_i32 s1, s22, s1
	s_add_i32 s23, s4, 1
	s_waitcnt lgkmcnt(0)
	s_mul_hi_u32 s41, s8, s33
	s_mul_i32 s42, s8, s5
	s_mul_i32 s9, s9, s33
	s_add_i32 s41, s41, s42
	v_and_b32_e32 v20, 0x7e, v0
	s_add_i32 s41, s41, s9
	s_sub_i32 s9, s1, s39
	s_cmp_ge_u32 s1, s39
	v_bfe_u32 v26, v0, 3, 27
	s_cselect_b32 s4, s23, s4
	s_cselect_b32 s1, s9, s1
	s_add_i32 s9, s4, 1
	s_cmp_ge_u32 s1, s39
	s_load_dwordx2 s[22:23], s[6:7], 0xc8
	s_cselect_b32 s1, s9, s4
	s_mul_hi_u32 s4, s28, s29
	s_xor_b32 s1, s1, s44
	s_mul_i32 s4, s4, s35
	s_sub_i32 s45, s1, s44
	s_sub_i32 s1, s28, s4
	s_mul_i32 s42, s45, s13
	s_mul_i32 s45, s45, s11
	s_ashr_i32 s44, s42, 31
	s_ashr_i32 s46, s45, 31
	s_sub_i32 s4, s1, s35
	s_cmp_ge_u32 s1, s35
	s_mul_i32 s11, s43, s30
	s_cselect_b32 s1, s4, s1
	s_clause 0x1
	s_load_dword s4, s[6:7], 0xd4
	s_load_dwordx2 s[28:29], s[6:7], 0xa8
	s_sub_i32 s9, s1, s35
	s_cmp_ge_u32 s1, s35
	v_add_nc_u32_e32 v20, v19, v20
	s_cselect_b32 s1, s9, s1
	v_mul_hi_u32_u24_e32 v27, 18, v26
	s_xor_b32 s1, s1, s5
	v_mul_u32_u24_e32 v26, 18, v26
	s_sub_i32 s1, s1, s5
	v_add_nc_u32_e32 v22, s40, v20
	s_ashr_i32 s9, s1, 31
	s_waitcnt lgkmcnt(0)
	s_mul_hi_u32 s13, s22, s1
	s_mul_i32 s9, s22, s9
	s_mul_i32 s23, s23, s1
	s_add_i32 s43, s13, s9
	s_ashr_i32 s13, s11, 31
	s_add_i32 s43, s43, s23
	s_cmp_lg_u64 s[18:19], 0
	s_mul_i32 s47, s22, s1
	s_cselect_b32 s9, -1, 0
	s_lshl_b32 s4, s4, 7
	s_cmp_lt_i32 s30, s36
	v_ashrrev_i32_e32 v23, 31, v22
	s_cselect_b32 s1, -1, 0
	v_mul_lo_u32 v28, v19, s10
	s_and_b32 s35, s9, s1
	s_or_b32 s1, s30, 1
	v_mad_u64_u32 v[32:33], null, s28, s33, v[26:27]
	s_cmp_lt_i32 s1, s36
	v_lshlrev_b64 v[22:23], 1, v[22:23]
	s_cselect_b32 s22, -1, 0
	s_mul_i32 s29, s29, s33
	s_and_b32 s39, s9, s22
	s_ashr_i32 s9, s40, 31
	v_add_co_u32 v24, s22, s40, v20
	v_add_co_ci_u32_e64 v25, null, s9, 0, s22
	s_add_u32 s48, s14, s42
	s_addc_u32 s40, s15, s44
	s_lshl_b64 s[22:23], s[2:3], 1
	v_lshlrev_b64 v[24:25], 1, v[24:25]
	s_add_u32 s9, s18, s22
	s_addc_u32 s49, s19, s23
	s_add_u32 s9, s9, s47
	s_mul_i32 s5, s28, s5
	s_addc_u32 s49, s49, s43
	v_add_co_u32 v79, vcc_lo, s9, v22
	v_and_b32_e32 v29, 12, v74
	v_ashrrev_i32_e32 v30, 31, v28
	v_add3_u32 v33, s5, s29, v33
	v_add_co_ci_u32_e64 v80, null, s49, v23, vcc_lo
	v_add_co_u32 v24, vcc_lo, s9, v24
	v_add_nc_u32_e32 v26, 31, v19
	v_add_co_ci_u32_e64 v25, null, s49, v25, vcc_lo
	v_add_co_u32 v22, vcc_lo, v32, v28
	v_cmp_eq_u32_e64 s1, 0, v21
	v_add_nc_u32_e32 v21, s10, v28
	v_add_co_ci_u32_e64 v23, null, v33, v30, vcc_lo
	v_add_co_u32 v29, vcc_lo, v32, v29
	v_mul_lo_u32 v35, s10, v26
	v_add_co_ci_u32_e64 v34, null, 0, v33, vcc_lo
	v_add_co_u32 v26, vcc_lo, v29, v28
	v_add_nc_u32_e32 v36, 30, v19
	v_add_nc_u32_e32 v83, s10, v21
	v_add_co_ci_u32_e64 v27, null, v34, v30, vcc_lo
	v_add_co_u32 v31, vcc_lo, v29, s45
	v_add_co_ci_u32_e64 v30, null, s46, v34, vcc_lo
	v_ashrrev_i32_e32 v34, 31, v35
	v_mul_lo_u32 v70, s10, v36
	v_add_nc_u32_e32 v36, 29, v19
	v_add_nc_u32_e32 v86, s10, v83
	v_add_co_u32 v28, vcc_lo, v31, v35
	v_add_co_ci_u32_e64 v29, null, v30, v34, vcc_lo
	v_add_co_u32 v84, vcc_lo, v32, s45
	v_mul_lo_u32 v71, s10, v36
	v_add_nc_u32_e32 v87, s10, v86
	v_add_co_ci_u32_e64 v85, null, s46, v33, vcc_lo
	v_add_nc_u32_e32 v81, 28, v19
	v_add_co_u32 v32, vcc_lo, v84, v35
	v_ashrrev_i32_e32 v35, 31, v70
	v_add_nc_u32_e32 v88, s10, v87
	v_add_co_ci_u32_e64 v33, null, v85, v34, vcc_lo
	v_add_co_u32 v36, vcc_lo, v31, v70
	v_mul_lo_u32 v90, s10, v81
	v_ashrrev_i32_e32 v89, 31, v71
	v_add_co_ci_u32_e64 v37, null, v30, v35, vcc_lo
	v_add_co_u32 v34, vcc_lo, v84, v70
	v_add_nc_u32_e32 v92, 27, v19
	v_add_nc_u32_e32 v91, s10, v88
	v_add_co_ci_u32_e64 v35, null, v85, v35, vcc_lo
	v_add_co_u32 v81, vcc_lo, v31, v71
	v_add_co_ci_u32_e64 v82, null, v30, v89, vcc_lo
	v_add_co_u32 v70, vcc_lo, v84, v71
	v_mul_lo_u32 v92, s10, v92
	v_add_nc_u32_e32 v93, s10, v91
	v_add_co_ci_u32_e64 v71, null, v85, v89, vcc_lo
	v_ashrrev_i32_e32 v89, 31, v90
	v_add_nc_u32_e32 v95, 26, v19
	v_add_co_u32 v115, vcc_lo, v31, v90
	v_add_nc_u32_e32 v94, s10, v93
	v_add_co_ci_u32_e64 v116, null, v30, v89, vcc_lo
	v_add_co_u32 v119, vcc_lo, v84, v90
	v_mul_lo_u32 v90, s10, v95
	v_add_co_ci_u32_e64 v120, null, v85, v89, vcc_lo
	v_ashrrev_i32_e32 v89, 31, v92
	v_add_nc_u32_e32 v97, 25, v19
	v_add_nc_u32_e32 v96, s10, v94
	v_add_co_u32 v121, vcc_lo, v31, v92
	v_add_co_ci_u32_e64 v122, null, v30, v89, vcc_lo
	v_add_co_u32 v123, vcc_lo, v84, v92
	v_mul_lo_u32 v92, s10, v97
	v_add_co_ci_u32_e64 v124, null, v85, v89, vcc_lo
	v_ashrrev_i32_e32 v89, 31, v90
	v_add_nc_u32_e32 v95, s10, v96
	v_add_co_u32 v125, vcc_lo, v31, v90
	v_add_nc_u32_e32 v101, 24, v19
	v_add_co_ci_u32_e64 v126, null, v30, v89, vcc_lo
	v_add_co_u32 v127, vcc_lo, v84, v90
	v_add_nc_u32_e32 v98, s10, v95
	v_add_co_ci_u32_e64 v128, null, v85, v89, vcc_lo
	v_ashrrev_i32_e32 v89, 31, v92
	v_add_co_u32 v129, vcc_lo, v31, v92
	v_add_nc_u32_e32 v97, s10, v98
	v_add_nc_u32_e32 v90, 23, v19
	v_add_co_ci_u32_e64 v130, null, v30, v89, vcc_lo
	v_add_co_u32 v131, vcc_lo, v84, v92
	v_add_co_ci_u32_e64 v132, null, v85, v89, vcc_lo
	v_mul_lo_u32 v89, s10, v101
	v_add_nc_u32_e32 v99, s10, v97
	v_add_nc_u32_e32 v103, 22, v19
	v_mul_lo_u32 v90, s10, v90
	v_add_nc_u32_e32 v104, 21, v19
	v_add_nc_u32_e32 v105, 20, v19
	;; [unrolled: 1-line block ×3, first 2 shown]
	v_mul_lo_u32 v103, s10, v103
	v_ashrrev_i32_e32 v143, 31, v89
	v_add_co_u32 v145, vcc_lo, v31, v89
	v_add_nc_u32_e32 v102, s10, v100
	v_mul_lo_u32 v104, s10, v104
	v_ashrrev_i32_e32 v92, 31, v90
	v_add_co_ci_u32_e64 v146, null, v30, v143, vcc_lo
	v_add_co_u32 v147, vcc_lo, v84, v89
	v_add_nc_u32_e32 v106, 19, v19
	v_add_co_ci_u32_e64 v143, null, v85, v143, vcc_lo
	v_add_co_u32 v148, vcc_lo, v31, v90
	v_mul_lo_u32 v105, s10, v105
	v_ashrrev_i32_e32 v109, 31, v103
	v_add_nc_u32_e32 v107, s10, v102
	v_add_co_ci_u32_e64 v149, null, v30, v92, vcc_lo
	v_add_co_u32 v150, vcc_lo, v84, v90
	v_add_co_ci_u32_e64 v151, null, v85, v92, vcc_lo
	v_add_co_u32 v152, vcc_lo, v31, v103
	v_mul_lo_u32 v106, s10, v106
	v_ashrrev_i32_e32 v110, 31, v104
	v_add_co_ci_u32_e64 v153, null, v30, v109, vcc_lo
	v_add_co_u32 v154, vcc_lo, v84, v103
	v_add_nc_u32_e32 v108, s10, v107
	v_add_co_ci_u32_e64 v155, null, v85, v109, vcc_lo
	v_add_co_u32 v156, vcc_lo, v31, v104
	v_ashrrev_i32_e32 v111, 31, v105
	v_add_co_ci_u32_e64 v157, null, v30, v110, vcc_lo
	v_add_co_u32 v158, vcc_lo, v84, v104
	v_add_nc_u32_e32 v101, s10, v108
	v_add_co_ci_u32_e64 v159, null, v85, v110, vcc_lo
	v_add_co_u32 v160, vcc_lo, v31, v105
	v_ashrrev_i32_e32 v112, 31, v106
	v_add_co_ci_u32_e64 v161, null, v30, v111, vcc_lo
	v_add_co_u32 v162, vcc_lo, v84, v105
	v_add_co_ci_u32_e64 v163, null, v85, v111, vcc_lo
	v_add_co_u32 v164, vcc_lo, v31, v106
	v_ashrrev_i32_e32 v113, 31, v101
	v_add_co_ci_u32_e64 v165, null, v30, v112, vcc_lo
	v_add_co_u32 v166, vcc_lo, v84, v106
	;; [unrolled: 5-line block ×17, first 2 shown]
	v_add_co_ci_u32_e64 v227, null, v85, v144, vcc_lo
	v_add_co_u32 v228, vcc_lo, v31, v86
	v_ashrrev_i32_e32 v90, 31, v83
	v_and_b32_e32 v87, 30, v78
	v_add_co_ci_u32_e64 v229, null, v30, v89, vcc_lo
	v_add_co_u32 v230, vcc_lo, v84, v86
	v_add_co_ci_u32_e64 v231, null, v85, v89, vcc_lo
	v_add_co_u32 v232, vcc_lo, v31, v83
	v_ashrrev_i32_e32 v92, 31, v21
	v_add_co_ci_u32_e64 v233, null, v30, v90, vcc_lo
	v_add_co_u32 v234, vcc_lo, v84, v83
	v_add_nc_u32_e32 v86, 2, v87
	v_xor_b32_e32 v87, 1, v78
	v_add_co_ci_u32_e64 v235, null, v85, v90, vcc_lo
	v_add_co_u32 v31, vcc_lo, v31, v21
	v_add_co_ci_u32_e64 v30, null, v30, v92, vcc_lo
	v_add_co_u32 v236, vcc_lo, v84, v21
	v_add_co_ci_u32_e64 v237, null, v85, v92, vcc_lo
	v_cmp_lt_i32_e32 vcc_lo, v87, v86
	v_xor_b32_e32 v84, 2, v78
	v_xor_b32_e32 v85, 4, v78
	v_xor_b32_e32 v86, 8, v78
	s_mul_i32 s29, s8, s33
	v_cndmask_b32_e32 v21, v78, v87, vcc_lo
	v_cmp_gt_i32_e32 vcc_lo, 32, v84
	v_xor_b32_e32 v87, 16, v78
	s_mov_b32 s5, s3
	v_add_co_u32 v18, s3, s29, v18
	v_lshlrev_b32_e32 v83, 2, v21
	v_mul_lo_u32 v21, v20, s12
	v_cndmask_b32_e32 v84, v78, v84, vcc_lo
	v_cmp_gt_i32_e32 vcc_lo, 32, v85
	v_add_co_ci_u32_e64 v95, null, s41, 0, s3
	s_lshl_b64 s[8:9], s[4:5], 1
	v_lshlrev_b32_e32 v20, 1, v20
	v_cndmask_b32_e32 v85, v78, v85, vcc_lo
	v_cmp_gt_i32_e32 vcc_lo, 32, v86
	v_add_nc_u32_e32 v93, s12, v21
	s_add_u32 s3, s47, s22
	s_addc_u32 s5, s43, s23
	v_lshlrev_b32_e32 v88, 1, v19
	v_cndmask_b32_e32 v86, v78, v86, vcc_lo
	v_cmp_gt_i32_e32 vcc_lo, 32, v87
	v_ashrrev_i32_e32 v94, 31, v93
	s_add_u32 s3, s18, s3
	s_addc_u32 s5, s19, s5
	v_add_co_u32 v20, s3, s3, v20
	v_cndmask_b32_e32 v87, v78, v87, vcc_lo
	v_add_co_u32 v19, vcc_lo, v18, v93
	v_add_co_ci_u32_e64 v90, null, v95, v94, vcc_lo
	v_add_co_ci_u32_e64 v92, null, s5, 0, s3
	v_add_co_u32 v89, vcc_lo, s48, v19
	v_add_co_ci_u32_e64 v90, null, s40, v90, vcc_lo
	v_add_co_u32 v91, vcc_lo, v20, 2
	v_add_co_ci_u32_e64 v92, null, 0, v92, vcc_lo
	;; [unrolled: 2-line block ×3, first 2 shown]
	v_ashrrev_i32_e32 v20, 31, v21
	v_add_co_u32 v18, vcc_lo, v18, v21
	s_add_u32 s3, s48, s29
	s_addc_u32 s5, s40, s41
	v_add_co_ci_u32_e64 v19, null, v19, v20, vcc_lo
	v_add_co_u32 v93, vcc_lo, s3, v93
	v_add_co_ci_u32_e64 v94, null, s5, v94, vcc_lo
	v_add_co_u32 v95, vcc_lo, s14, v18
	;; [unrolled: 2-line block ×3, first 2 shown]
	s_add_u32 s3, s16, s45
	v_add_co_ci_u32_e64 v98, null, 0, v25, vcc_lo
	s_addc_u32 s5, s17, s46
	v_add_co_u32 v18, vcc_lo, s3, v26
	v_add_co_ci_u32_e64 v19, null, s5, v27, vcc_lo
	v_add_co_u32 v99, vcc_lo, s3, v22
	s_add_u32 s3, s29, s42
	v_add_co_ci_u32_e64 v100, null, s5, v23, vcc_lo
	s_addc_u32 s5, s41, s44
	v_add_co_u32 v101, vcc_lo, v18, 2
	s_add_u32 s3, s14, s3
	v_add_co_ci_u32_e64 v102, null, 0, v19, vcc_lo
	s_addc_u32 s5, s15, s5
	v_add_co_u32 v18, vcc_lo, s3, v21
	v_add_co_ci_u32_e64 v19, null, s5, v20, vcc_lo
	v_add_co_u32 v20, vcc_lo, s16, v28
	v_add_co_ci_u32_e64 v21, null, s17, v29, vcc_lo
	;; [unrolled: 2-line block ×91, first 2 shown]
	ds_read_b128 v[18:21], v76
	v_add_co_u32 v22, vcc_lo, s16, v31
	v_add_co_ci_u32_e64 v23, null, s17, v30, vcc_lo
	v_add_co_u32 v223, vcc_lo, s16, v234
	v_add_co_ci_u32_e64 v224, null, s17, v235, vcc_lo
	;; [unrolled: 2-line block ×3, first 2 shown]
	v_add_co_u32 v227, vcc_lo, s16, v236
	v_lshlrev_b32_e32 v84, 2, v84
	v_lshlrev_b32_e32 v85, 2, v85
	;; [unrolled: 1-line block ×4, first 2 shown]
	v_add_co_ci_u32_e64 v228, null, s17, v237, vcc_lo
	v_mov_b32_e32 v82, 0
	v_and_b32_e32 v229, 4, v0
	v_mov_b32_e32 v23, 0xfeffffff
	v_mov_b32_e32 v230, 0x10001
	;; [unrolled: 1-line block ×5, first 2 shown]
	s_mul_i32 s28, s10, s2
	s_mul_i32 s3, s12, s2
	;; [unrolled: 1-line block ×4, first 2 shown]
.LBB19_17:                              ; =>This Inner Loop Header: Depth=1
	v_add_co_u32 v24, vcc_lo, v95, s3
	v_add_co_ci_u32_e64 v25, null, 0, v96, vcc_lo
	v_add_co_u32 v29, vcc_lo, v103, s3
	v_add_co_ci_u32_e64 v30, null, 0, v104, vcc_lo
	s_clause 0x5
	global_load_dword v31, v[24:25], off offset:2
	global_load_dword v32, v[24:25], off offset:10
	;; [unrolled: 1-line block ×6, first 2 shown]
	global_load_ushort v26, v[29:30], off offset:-54
	global_load_dword v237, v[24:25], off offset:56
	global_load_ushort v28, v[29:30], off offset:-36
	global_load_dword v24, v[24:25], off offset:64
	s_clause 0x1
	global_load_ushort v27, v[29:30], off offset:-18
	global_load_ushort v25, v[29:30], off
	v_mov_b32_e32 v29, 0
	v_mov_b32_e32 v30, 0
	;; [unrolled: 1-line block ×16, first 2 shown]
	s_and_b32 vcc_lo, exec_lo, s35
	s_waitcnt vmcnt(11)
	v_and_b32_e32 v236, 0xf0f0f0f, v31
	s_waitcnt vmcnt(10)
	v_and_b32_e32 v234, 0xf0f0f0f, v32
	v_lshrrev_b32_e32 v31, 4, v31
	v_lshrrev_b32_e32 v32, 4, v32
	s_waitcnt vmcnt(9)
	v_and_b32_e32 v71, 0xf0f0f0f, v33
	v_dot4c_i32_i8 v29, v236, v38
	v_dot4c_i32_i8 v30, v234, v39
	v_and_b32_e32 v235, 0xf0f0f0f, v31
	v_and_b32_e32 v233, 0xf0f0f0f, v32
	v_lshrrev_b32_e32 v250, 4, v33
	v_cvt_f32_i32_e32 v29, v29
	v_cvt_f32_i32_e32 v30, v30
	v_dot4c_i32_i8 v70, v235, v40
	s_waitcnt vmcnt(7)
	v_and_b32_e32 v33, 0xf0f0f0f, v35
	v_lshrrev_b32_e32 v32, 4, v35
	v_fma_f32 v29, v2, v29, -v3
	v_dot4c_i32_i8 v232, v233, v41
	v_fma_f32 v30, v2, v30, -v3
	v_cvt_f32_i32_e32 v35, v70
	v_and_b32_e32 v37, 0xf0f0f0f, v34
	s_waitcnt vmcnt(5)
	v_fma_mix_f32 v29, v29, v26, 0 op_sel_hi:[0,1,0]
	v_and_b32_e32 v31, 0xf0f0f0f, v36
	v_lshrrev_b32_e32 v251, 4, v36
	v_dot4c_i32_i8 v238, v71, v42
	v_cvt_f32_i32_e32 v36, v232
	v_fma_f32 v35, v2, v35, -v3
	v_fma_mix_f32 v29, v30, v26, v29 op_sel_hi:[0,1,0]
	v_lshrrev_b32_e32 v34, 4, v34
	v_and_b32_e32 v232, 0xf0f0f0f, v250
	v_dot4c_i32_i8 v239, v37, v43
	v_cvt_f32_i32_e32 v30, v238
	v_fma_f32 v36, v2, v36, -v3
	v_fma_mix_f32 v29, v35, v26, v29 op_sel_hi:[0,1,0]
	v_and_b32_e32 v70, 0xf0f0f0f, v34
	v_cvt_f32_i32_e32 v34, v239
	v_dot4c_i32_i8 v240, v232, v44
	v_fma_f32 v35, v4, v30, -v5
	v_fma_mix_f32 v29, v36, v26, v29 op_sel_hi:[0,1,0]
	v_dot4c_i32_i8 v241, v70, v45
	v_fma_f32 v34, v4, v34, -v5
	v_cvt_f32_i32_e32 v36, v240
	v_dot4c_i32_i8 v242, v33, v46
	s_waitcnt vmcnt(3)
	v_fma_mix_f32 v35, v35, v28, v29 op_sel_hi:[0,1,0]
	v_cvt_f32_i32_e32 v238, v241
	v_dot4c_i32_i8 v243, v31, v47
	v_fma_f32 v239, v4, v36, -v5
	v_and_b32_e32 v36, 0xf0f0f0f, v32
	v_fma_mix_f32 v34, v34, v28, v35 op_sel_hi:[0,1,0]
	v_cvt_f32_i32_e32 v32, v242
	v_fma_f32 v238, v4, v238, -v5
	v_and_b32_e32 v35, 0xf0f0f0f, v251
	v_dot4c_i32_i8 v244, v36, v48
	v_fma_mix_f32 v34, v239, v28, v34 op_sel_hi:[0,1,0]
	v_cvt_f32_i32_e32 v239, v243
	v_fma_f32 v32, v6, v32, -v7
	v_and_b32_e32 v30, 0xf0f0f0f, v237
	v_dot4c_i32_i8 v245, v35, v49
	v_fma_mix_f32 v34, v238, v28, v34 op_sel_hi:[0,1,0]
	v_fma_f32 v238, v6, v239, -v7
	v_cvt_f32_i32_e32 v239, v244
	s_waitcnt vmcnt(2)
	v_and_b32_e32 v29, 0xf0f0f0f, v24
	v_lshrrev_b32_e32 v237, 4, v237
	s_waitcnt vmcnt(1)
	v_fma_mix_f32 v32, v32, v27, v34 op_sel_hi:[0,1,0]
	v_dot4c_i32_i8 v246, v30, v50
	v_cvt_f32_i32_e32 v240, v245
	v_fma_f32 v239, v6, v239, -v7
	v_lshrrev_b32_e32 v24, 4, v24
	v_fma_mix_f32 v32, v238, v27, v32 op_sel_hi:[0,1,0]
	v_and_b32_e32 v34, 0xf0f0f0f, v237
	v_dot4c_i32_i8 v247, v29, v51
	v_cvt_f32_i32_e32 v237, v246
	v_fma_f32 v238, v6, v240, -v7
	v_fma_mix_f32 v239, v239, v27, v32 op_sel_hi:[0,1,0]
	v_and_b32_e32 v32, 0xf0f0f0f, v24
	v_cvt_f32_i32_e32 v24, v247
	v_dot4c_i32_i8 v248, v34, v52
	v_fma_f32 v237, v8, v237, -v9
	v_fma_mix_f32 v238, v238, v27, v239 op_sel_hi:[0,1,0]
	v_dot4c_i32_i8 v249, v32, v53
	v_fma_f32 v24, v8, v24, -v9
	v_cvt_f32_i32_e32 v239, v248
	s_waitcnt vmcnt(0)
	v_fma_mix_f32 v237, v237, v25, v238 op_sel_hi:[0,1,0]
	v_cvt_f32_i32_e32 v238, v249
	v_fma_f32 v239, v8, v239, -v9
	v_fma_mix_f32 v24, v24, v25, v237 op_sel_hi:[0,1,0]
	v_fma_f32 v237, v8, v238, -v9
	v_fma_mix_f32 v24, v239, v25, v24 op_sel_hi:[0,1,0]
	v_fma_mix_f32 v24, v237, v25, v24 op_sel_hi:[0,1,0]
	ds_bpermute_b32 v237, v83, v24
	s_waitcnt lgkmcnt(0)
	v_add_f32_e32 v24, v24, v237
	s_cbranch_vccz .LBB19_19
; %bb.18:                               ;   in Loop: Header=BB19_17 Depth=1
	v_add_co_u32 v237, vcc_lo, v91, s11
	v_add_co_ci_u32_e64 v238, null, s13, v92, vcc_lo
	global_load_ushort v237, v[237:238], off offset:-2
	s_waitcnt vmcnt(0)
	v_fma_mix_f32 v24, v77, v237, v24 op_sel_hi:[0,1,0]
.LBB19_19:                              ;   in Loop: Header=BB19_17 Depth=1
	v_mov_b32_e32 v237, 0
	v_mov_b32_e32 v238, 0
	v_cvt_f32_f16_e32 v26, v26
	v_cvt_f32_f16_e32 v28, v28
	;; [unrolled: 1-line block ×3, first 2 shown]
	v_dot4c_i32_i8 v237, v236, v54
	v_mov_b32_e32 v236, 0
	v_dot4c_i32_i8 v238, v234, v55
	v_cvt_f32_f16_e32 v25, v25
	s_andn2_b32 vcc_lo, exec_lo, s39
	v_cvt_f32_i32_e32 v234, v237
	v_mov_b32_e32 v237, 0
	v_dot4c_i32_i8 v236, v235, v56
	v_cvt_f32_i32_e32 v235, v238
	v_mov_b32_e32 v238, 0
	v_fma_f32 v234, v10, v234, -v11
	v_dot4c_i32_i8 v237, v233, v57
	v_cvt_f32_i32_e32 v233, v236
	v_fma_f32 v235, v10, v235, -v11
	v_mov_b32_e32 v236, 0
	v_fma_f32 v234, v234, v26, 0
	v_dot4c_i32_i8 v238, v71, v58
	v_cvt_f32_i32_e32 v71, v237
	v_fma_f32 v233, v10, v233, -v11
	v_dot4c_i32_i8 v236, v37, v59
	v_fmac_f32_e32 v234, v235, v26
	v_mov_b32_e32 v235, 0
	v_cvt_f32_i32_e32 v37, v238
	v_fma_f32 v71, v10, v71, -v11
	v_fmac_f32_e32 v234, v233, v26
	v_mov_b32_e32 v233, 0
	v_dot4c_i32_i8 v235, v232, v60
	v_cvt_f32_i32_e32 v232, v236
	v_fma_f32 v37, v12, v37, -v13
	v_fmac_f32_e32 v234, v71, v26
	v_mov_b32_e32 v26, 0
	v_dot4c_i32_i8 v233, v70, v61
	;; [unrolled: 5-line block ×8, first 2 shown]
	v_cvt_f32_i32_e32 v28, v28
	v_fma_f32 v29, v14, v30, -v15
	v_fmac_f32_e32 v234, v31, v27
	v_dot4c_i32_i8 v33, v34, v68
	v_cvt_f32_i32_e32 v26, v26
	v_fma_f32 v28, v16, v28, -v17
	v_fmac_f32_e32 v234, v29, v27
	v_mov_b32_e32 v27, 0
	v_cvt_f32_i32_e32 v29, v33
	v_fma_f32 v26, v16, v26, -v17
	v_fmac_f32_e32 v234, v28, v25
	v_dot4c_i32_i8 v27, v32, v69
	v_fma_f32 v28, v16, v29, -v17
	v_fmac_f32_e32 v234, v26, v25
	v_cvt_f32_i32_e32 v26, v27
	v_fmac_f32_e32 v234, v28, v25
	v_fma_f32 v26, v16, v26, -v17
	v_fmac_f32_e32 v234, v26, v25
	ds_bpermute_b32 v25, v83, v234
	s_waitcnt lgkmcnt(0)
	v_add_f32_e32 v25, v234, v25
	s_cbranch_vccnz .LBB19_21
; %bb.20:                               ;   in Loop: Header=BB19_17 Depth=1
	v_add_co_u32 v26, vcc_lo, v79, s11
	v_add_co_ci_u32_e64 v27, null, s13, v80, vcc_lo
	global_load_ushort v26, v[26:27], off
	s_waitcnt vmcnt(0)
	v_fma_mix_f32 v25, v77, v26, v25 op_sel_hi:[0,1,0]
.LBB19_21:                              ;   in Loop: Header=BB19_17 Depth=1
	v_add_co_u32 v29, vcc_lo, v89, s3
	v_add_co_ci_u32_e64 v30, null, 0, v90, vcc_lo
	v_add_co_u32 v31, vcc_lo, v93, s3
	v_add_co_ci_u32_e64 v32, null, 0, v94, vcc_lo
	s_clause 0x5
	global_load_dword v33, v[29:30], off offset:2
	global_load_dword v34, v[29:30], off offset:10
	;; [unrolled: 1-line block ×6, first 2 shown]
	s_clause 0x1
	global_load_ushort v27, v[31:32], off
	global_load_ushort v28, v[31:32], off offset:18
	s_clause 0x1
	global_load_dword v239, v[29:30], off offset:56
	global_load_dword v30, v[29:30], off offset:64
	s_clause 0x1
	global_load_ushort v29, v[31:32], off offset:36
	global_load_ushort v26, v[31:32], off offset:54
	v_mov_b32_e32 v31, 0
	v_mov_b32_e32 v32, 0
	;; [unrolled: 1-line block ×16, first 2 shown]
	s_andn2_b32 vcc_lo, exec_lo, s35
	s_waitcnt vmcnt(11)
	v_and_b32_e32 v238, 0xf0f0f0f, v33
	s_waitcnt vmcnt(10)
	v_and_b32_e32 v236, 0xf0f0f0f, v34
	v_lshrrev_b32_e32 v33, 4, v33
	v_lshrrev_b32_e32 v34, 4, v34
	s_waitcnt vmcnt(9)
	v_and_b32_e32 v233, 0xf0f0f0f, v35
	v_dot4c_i32_i8 v31, v238, v38
	v_dot4c_i32_i8 v32, v236, v39
	v_and_b32_e32 v237, 0xf0f0f0f, v33
	v_and_b32_e32 v235, 0xf0f0f0f, v34
	s_waitcnt vmcnt(8)
	v_and_b32_e32 v71, 0xf0f0f0f, v36
	v_cvt_f32_i32_e32 v31, v31
	v_cvt_f32_i32_e32 v32, v32
	v_dot4c_i32_i8 v232, v237, v40
	v_dot4c_i32_i8 v234, v235, v41
	v_lshrrev_b32_e32 v252, 4, v35
	v_fma_f32 v31, v2, v31, -v3
	v_fma_f32 v32, v2, v32, -v3
	v_cvt_f32_i32_e32 v34, v232
	v_dot4c_i32_i8 v240, v233, v42
	v_cvt_f32_i32_e32 v232, v234
	s_waitcnt vmcnt(5)
	v_fma_mix_f32 v31, v31, v27, 0 op_sel_hi:[0,1,0]
	v_lshrrev_b32_e32 v36, 4, v36
	v_fma_f32 v34, v2, v34, -v3
	v_and_b32_e32 v234, 0xf0f0f0f, v252
	v_dot4c_i32_i8 v241, v71, v43
	v_fma_mix_f32 v31, v32, v27, v31 op_sel_hi:[0,1,0]
	v_cvt_f32_i32_e32 v32, v240
	v_fma_f32 v240, v2, v232, -v3
	v_and_b32_e32 v232, 0xf0f0f0f, v36
	v_dot4c_i32_i8 v242, v234, v44
	v_fma_mix_f32 v31, v34, v27, v31 op_sel_hi:[0,1,0]
	v_cvt_f32_i32_e32 v34, v241
	v_fma_f32 v32, v4, v32, -v5
	v_and_b32_e32 v35, 0xf0f0f0f, v37
	v_and_b32_e32 v33, 0xf0f0f0f, v70
	v_fma_mix_f32 v31, v240, v27, v31 op_sel_hi:[0,1,0]
	v_lshrrev_b32_e32 v36, 4, v70
	v_dot4c_i32_i8 v243, v232, v45
	v_fma_f32 v34, v4, v34, -v5
	v_cvt_f32_i32_e32 v70, v242
	s_waitcnt vmcnt(4)
	v_fma_mix_f32 v32, v32, v28, v31 op_sel_hi:[0,1,0]
	v_lshrrev_b32_e32 v37, 4, v37
	v_dot4c_i32_i8 v244, v35, v46
	v_cvt_f32_i32_e32 v240, v243
	v_fma_f32 v241, v4, v70, -v5
	v_fma_mix_f32 v32, v34, v28, v32 op_sel_hi:[0,1,0]
	v_and_b32_e32 v70, 0xf0f0f0f, v37
	v_dot4c_i32_i8 v245, v33, v47
	v_cvt_f32_i32_e32 v34, v244
	v_fma_f32 v240, v4, v240, -v5
	v_fma_mix_f32 v32, v241, v28, v32 op_sel_hi:[0,1,0]
	v_and_b32_e32 v37, 0xf0f0f0f, v36
	v_cvt_f32_i32_e32 v36, v245
	v_dot4c_i32_i8 v246, v70, v48
	v_fma_f32 v241, v6, v34, -v7
	v_fma_mix_f32 v32, v240, v28, v32 op_sel_hi:[0,1,0]
	s_waitcnt vmcnt(3)
	v_and_b32_e32 v31, 0xf0f0f0f, v239
	v_dot4c_i32_i8 v247, v37, v49
	v_fma_f32 v36, v6, v36, -v7
	v_cvt_f32_i32_e32 v240, v246
	s_waitcnt vmcnt(1)
	v_fma_mix_f32 v32, v241, v29, v32 op_sel_hi:[0,1,0]
	v_and_b32_e32 v34, 0xf0f0f0f, v30
	v_lshrrev_b32_e32 v239, 4, v239
	v_dot4c_i32_i8 v248, v31, v50
	v_cvt_f32_i32_e32 v241, v247
	v_fma_f32 v240, v6, v240, -v7
	v_fma_mix_f32 v32, v36, v29, v32 op_sel_hi:[0,1,0]
	v_lshrrev_b32_e32 v30, 4, v30
	v_dot4c_i32_i8 v249, v34, v51
	v_cvt_f32_i32_e32 v242, v248
	v_fma_f32 v241, v6, v241, -v7
	v_fma_mix_f32 v240, v240, v29, v32 op_sel_hi:[0,1,0]
	v_and_b32_e32 v36, 0xf0f0f0f, v239
	v_and_b32_e32 v32, 0xf0f0f0f, v30
	v_cvt_f32_i32_e32 v30, v249
	v_fma_f32 v239, v8, v242, -v9
	v_fma_mix_f32 v240, v241, v29, v240 op_sel_hi:[0,1,0]
	v_dot4c_i32_i8 v250, v36, v52
	v_dot4c_i32_i8 v251, v32, v53
	v_fma_f32 v30, v8, v30, -v9
	s_waitcnt vmcnt(0)
	v_fma_mix_f32 v239, v239, v26, v240 op_sel_hi:[0,1,0]
	v_cvt_f32_i32_e32 v240, v250
	v_cvt_f32_i32_e32 v241, v251
	v_fma_mix_f32 v30, v30, v26, v239 op_sel_hi:[0,1,0]
	v_fma_f32 v239, v8, v240, -v9
	v_fma_f32 v240, v8, v241, -v9
	v_fma_mix_f32 v30, v239, v26, v30 op_sel_hi:[0,1,0]
	v_fma_mix_f32 v30, v240, v26, v30 op_sel_hi:[0,1,0]
	ds_bpermute_b32 v239, v83, v30
	s_waitcnt lgkmcnt(0)
	v_add_f32_e32 v30, v30, v239
	s_cbranch_vccnz .LBB19_23
; %bb.22:                               ;   in Loop: Header=BB19_17 Depth=1
	v_add_co_u32 v239, vcc_lo, v91, s11
	v_add_co_ci_u32_e64 v240, null, s13, v92, vcc_lo
	global_load_ushort v239, v[239:240], off
	s_waitcnt vmcnt(0)
	v_fma_mix_f32 v30, v77, v239, v30 op_sel_hi:[0,1,0]
.LBB19_23:                              ;   in Loop: Header=BB19_17 Depth=1
	v_mov_b32_e32 v239, 0
	v_mov_b32_e32 v240, 0
	v_cvt_f32_f16_e32 v27, v27
	v_cvt_f32_f16_e32 v28, v28
	;; [unrolled: 1-line block ×3, first 2 shown]
	v_dot4c_i32_i8 v239, v238, v54
	v_mov_b32_e32 v238, 0
	v_dot4c_i32_i8 v240, v236, v55
	v_cvt_f32_f16_e32 v26, v26
	s_andn2_b32 vcc_lo, exec_lo, s39
	v_cvt_f32_i32_e32 v236, v239
	v_mov_b32_e32 v239, 0
	v_dot4c_i32_i8 v238, v237, v56
	v_cvt_f32_i32_e32 v237, v240
	v_mov_b32_e32 v240, 0
	v_fma_f32 v236, v10, v236, -v11
	v_dot4c_i32_i8 v239, v235, v57
	v_cvt_f32_i32_e32 v235, v238
	v_fma_f32 v237, v10, v237, -v11
	v_mov_b32_e32 v238, 0
	v_fma_f32 v236, v236, v27, 0
	v_dot4c_i32_i8 v240, v233, v58
	v_cvt_f32_i32_e32 v233, v239
	v_fma_f32 v235, v10, v235, -v11
	v_dot4c_i32_i8 v238, v71, v59
	v_fmac_f32_e32 v236, v237, v27
	v_mov_b32_e32 v237, 0
	v_cvt_f32_i32_e32 v71, v240
	v_fma_f32 v233, v10, v233, -v11
	v_fmac_f32_e32 v236, v235, v27
	v_mov_b32_e32 v235, 0
	v_dot4c_i32_i8 v237, v234, v60
	v_cvt_f32_i32_e32 v234, v238
	v_fma_f32 v71, v12, v71, -v13
	v_fmac_f32_e32 v236, v233, v27
	v_mov_b32_e32 v27, 0
	v_dot4c_i32_i8 v235, v232, v61
	;; [unrolled: 5-line block ×8, first 2 shown]
	v_cvt_f32_i32_e32 v28, v28
	v_fma_f32 v31, v14, v31, -v15
	v_fmac_f32_e32 v236, v33, v29
	v_dot4c_i32_i8 v35, v36, v68
	v_cvt_f32_i32_e32 v27, v27
	v_fma_f32 v28, v16, v28, -v17
	v_fmac_f32_e32 v236, v31, v29
	v_mov_b32_e32 v29, 0
	v_cvt_f32_i32_e32 v31, v35
	v_fma_f32 v27, v16, v27, -v17
	v_fmac_f32_e32 v236, v28, v26
	v_dot4c_i32_i8 v29, v32, v69
	v_fma_f32 v28, v16, v31, -v17
	v_fmac_f32_e32 v236, v27, v26
	v_cvt_f32_i32_e32 v27, v29
	v_fmac_f32_e32 v236, v28, v26
	v_fma_f32 v27, v16, v27, -v17
	v_fmac_f32_e32 v236, v27, v26
	ds_bpermute_b32 v26, v83, v236
	s_waitcnt lgkmcnt(0)
	v_add_f32_e32 v26, v236, v26
	s_cbranch_vccnz .LBB19_25
; %bb.24:                               ;   in Loop: Header=BB19_17 Depth=1
	v_add_co_u32 v27, vcc_lo, v97, s11
	v_add_co_ci_u32_e64 v28, null, s13, v98, vcc_lo
	global_load_ushort v27, v[27:28], off
	s_waitcnt vmcnt(0)
	v_fma_mix_f32 v26, v77, v27, v26 op_sel_hi:[0,1,0]
.LBB19_25:                              ;   in Loop: Header=BB19_17 Depth=1
	v_cndmask_b32_e64 v27, v231, v24, s1
	v_add_f32_e32 v24, 0x40051340, v24
	v_add_f32_e32 v28, 0x40051340, v30
	;; [unrolled: 1-line block ×3, first 2 shown]
	s_add_i32 s2, s2, s4
	s_cmp_ge_i32 s2, s31
	v_max3_f32 v24, v23, v24, v28
	v_add_f32_e32 v28, 0x40051340, v25
	v_cndmask_b32_e64 v25, v26, v25, s1
	v_cndmask_b32_e64 v26, v30, v27, s1
	ds_bpermute_b32 v27, v84, v24
	v_max3_f32 v28, v22, v28, v29
	s_waitcnt lgkmcnt(0)
	v_max_f32_e32 v27, v27, v27
	v_max_f32_e32 v24, v24, v27
	ds_bpermute_b32 v27, v85, v24
	s_waitcnt lgkmcnt(0)
	v_max_f32_e32 v27, v27, v27
	v_max_f32_e32 v24, v24, v27
	ds_bpermute_b32 v27, v86, v24
	;; [unrolled: 4-line block ×3, first 2 shown]
	s_waitcnt lgkmcnt(0)
	v_max_f32_e32 v27, v27, v27
	v_max_f32_e32 v70, v24, v27
	v_sub_f32_e32 v23, v23, v70
	v_mul_f32_e32 v24, 0x3fb8aa3b, v23
	v_cmp_ngt_f32_e32 vcc_lo, 0xc2ce8ed0, v23
	v_fma_f32 v27, 0x3fb8aa3b, v23, -v24
	v_rndne_f32_e32 v29, v24
	v_fmac_f32_e32 v27, 0x32a5705f, v23
	v_sub_f32_e32 v24, v24, v29
	v_add_f32_e32 v24, v24, v27
	v_cvt_i32_f32_e32 v27, v29
	v_exp_f32_e32 v24, v24
	v_ldexp_f32 v24, v24, v27
	v_cndmask_b32_e32 v24, 0, v24, vcc_lo
	v_cmp_nlt_f32_e32 vcc_lo, 0x42b17218, v23
	v_cndmask_b32_e32 v23, 0x7f800000, v24, vcc_lo
	v_sub_f32_e32 v24, v26, v70
	v_mul_f32_e32 v26, 0x3fb8aa3b, v24
	v_cmp_ngt_f32_e32 vcc_lo, 0xc2ce8ed0, v24
	v_fma_f32 v27, 0x3fb8aa3b, v24, -v26
	v_rndne_f32_e32 v29, v26
	v_fmac_f32_e32 v27, 0x32a5705f, v24
	v_sub_f32_e32 v26, v26, v29
	v_add_f32_e32 v26, v26, v27
	v_cvt_i32_f32_e32 v27, v29
	v_exp_f32_e32 v26, v26
	v_ldexp_f32 v26, v26, v27
	v_cndmask_b32_e32 v26, 0, v26, vcc_lo
	v_cmp_nlt_f32_e32 vcc_lo, 0x42b17218, v24
	v_cndmask_b32_e32 v231, 0x7f800000, v26, vcc_lo
	v_fma_f32 v82, v82, v23, v231
	v_cvt_f16_f32_e32 v23, v23
	v_cvt_f16_f32_e32 v24, v231
	v_mul_u32_u24_sdwa v23, v23, v230 dst_sel:DWORD dst_unused:UNUSED_PAD src0_sel:WORD_0 src1_sel:DWORD
	ds_write_b16 v75, v24
	v_pk_mul_f16 v236, v18, v23
	ds_bpermute_b32 v18, v84, v28
	v_pk_mul_f16 v237, v19, v23
	s_waitcnt lgkmcnt(0)
	v_max_f32_e32 v18, v18, v18
	v_max_f32_e32 v18, v28, v18
	ds_bpermute_b32 v19, v85, v18
	s_waitcnt lgkmcnt(0)
	v_max_f32_e32 v19, v19, v19
	v_max_f32_e32 v18, v18, v19
	ds_bpermute_b32 v19, v86, v18
	;; [unrolled: 4-line block ×3, first 2 shown]
	s_waitcnt lgkmcnt(0)
	v_max_f32_e32 v19, v19, v19
	v_max_f32_e32 v71, v18, v19
	v_sub_f32_e32 v18, v22, v71
	v_mul_f32_e32 v19, 0x3fb8aa3b, v18
	v_cmp_ngt_f32_e32 vcc_lo, 0xc2ce8ed0, v18
	v_fma_f32 v22, 0x3fb8aa3b, v18, -v19
	v_rndne_f32_e32 v23, v19
	v_fmac_f32_e32 v22, 0x32a5705f, v18
	v_sub_f32_e32 v19, v19, v23
	v_add_f32_e32 v19, v19, v22
	v_cvt_i32_f32_e32 v22, v23
	v_exp_f32_e32 v19, v19
	v_ldexp_f32 v19, v19, v22
	v_cndmask_b32_e32 v19, 0, v19, vcc_lo
	v_cmp_nlt_f32_e32 vcc_lo, 0x42b17218, v18
	v_cndmask_b32_e32 v18, 0x7f800000, v19, vcc_lo
	v_sub_f32_e32 v19, v25, v71
	v_mul_f32_e32 v22, 0x3fb8aa3b, v19
	v_cmp_ngt_f32_e32 vcc_lo, 0xc2ce8ed0, v19
	v_fma_f32 v23, 0x3fb8aa3b, v19, -v22
	v_rndne_f32_e32 v24, v22
	v_fmac_f32_e32 v23, 0x32a5705f, v19
	v_sub_f32_e32 v22, v22, v24
	v_add_f32_e32 v22, v22, v23
	v_cvt_i32_f32_e32 v23, v24
	v_exp_f32_e32 v22, v22
	v_ldexp_f32 v22, v22, v23
	v_cndmask_b32_e32 v22, 0, v22, vcc_lo
	v_cmp_nlt_f32_e32 vcc_lo, 0x42b17218, v19
	v_cndmask_b32_e32 v19, 0x7f800000, v22, vcc_lo
	v_add_co_u32 v232, vcc_lo, v99, s28
	v_add_co_ci_u32_e64 v233, null, 0, v100, vcc_lo
	v_fma_f32 v81, v81, v18, v19
	v_cvt_f16_f32_e32 v18, v18
	v_add_co_u32 v234, vcc_lo, v101, s28
	v_cvt_f16_f32_e32 v19, v19
	v_add_co_ci_u32_e64 v235, null, 0, v102, vcc_lo
	v_mul_u32_u24_sdwa v18, v18, v230 dst_sel:DWORD dst_unused:UNUSED_PAD src0_sel:WORD_0 src1_sel:DWORD
	ds_write_b16 v75, v19 offset:256
	v_pk_mul_f16 v238, v20, v18
	v_pk_mul_f16 v239, v21, v18
	ds_read_b128 v[30:33], v88
	ds_read_b128 v[26:29], v88 offset:16
	ds_read_b128 v[22:25], v88 offset:32
	;; [unrolled: 1-line block ×3, first 2 shown]
	global_load_dword v234, v[234:235], off
	global_load_ushort v232, v[232:233], off
	ds_read_b128 v[34:37], v88 offset:256
	s_waitcnt lgkmcnt(4)
	v_mul_u32_u24_sdwa v240, v30, v230 dst_sel:DWORD dst_unused:UNUSED_PAD src0_sel:WORD_0 src1_sel:DWORD
	v_mul_u32_u24_sdwa v30, v30, v230 dst_sel:DWORD dst_unused:UNUSED_PAD src0_sel:WORD_1 src1_sel:DWORD
	s_waitcnt lgkmcnt(0)
	v_mul_u32_u24_sdwa v241, v34, v230 dst_sel:DWORD dst_unused:UNUSED_PAD src0_sel:WORD_0 src1_sel:DWORD
	v_mul_u32_u24_sdwa v34, v34, v230 dst_sel:DWORD dst_unused:UNUSED_PAD src0_sel:WORD_1 src1_sel:DWORD
	s_waitcnt vmcnt(1)
	v_ashrrev_i32_e32 v234, v229, v234
	s_waitcnt vmcnt(0)
	v_mul_u32_u24_e32 v232, 0x10001, v232
	v_and_b32_e32 v234, 0xf0f0f0f, v234
	v_lshrrev_b32_e32 v235, 16, v234
	v_and_b32_e32 v242, 0xf00, v235
	v_lshlrev_b16 v235, 8, v235
	v_add_nc_u16 v235, 0xf800, v235
	v_or_b32_sdwa v235, v242, v235 dst_sel:DWORD dst_unused:UNUSED_PAD src0_sel:DWORD src1_sel:BYTE_1
	v_and_b32_e32 v242, 0xf00, v234
	v_lshlrev_b16 v234, 8, v234
	v_add_nc_u16 v235, 0xf800, v235
	v_add_nc_u16 v234, 0xf800, v234
	v_or_b32_sdwa v234, v242, v234 dst_sel:DWORD dst_unused:UNUSED_PAD src0_sel:DWORD src1_sel:BYTE_1
	v_add_nc_u16 v234, 0xf800, v234
	v_lshrrev_b32_e32 v233, 8, v234
	v_cvt_f16_i16_sdwa v234, sext(v234) dst_sel:DWORD dst_unused:UNUSED_PAD src0_sel:BYTE_0
	v_cvt_f16_i16_sdwa v233, sext(v233) dst_sel:DWORD dst_unused:UNUSED_PAD src0_sel:BYTE_0
	v_pack_b32_f16 v233, v234, v233
	v_lshrrev_b32_e32 v234, 8, v235
	v_cvt_f16_i16_sdwa v235, sext(v235) dst_sel:DWORD dst_unused:UNUSED_PAD src0_sel:BYTE_0
	v_pk_mul_f16 v233, v233, v232
	v_cvt_f16_i16_sdwa v234, sext(v234) dst_sel:DWORD dst_unused:UNUSED_PAD src0_sel:BYTE_0
	v_pk_fma_f16 v236, v233, v240, v236
	v_pack_b32_f16 v234, v235, v234
	v_pk_fma_f16 v238, v233, v241, v238
	v_pk_mul_f16 v232, v234, v232
	v_pk_fma_f16 v237, v232, v240, v237
	v_pk_fma_f16 v239, v232, v241, v239
	v_add_co_u32 v232, vcc_lo, v227, s28
	v_add_co_ci_u32_e64 v233, null, 0, v228, vcc_lo
	v_add_co_u32 v234, vcc_lo, v225, s28
	v_add_co_ci_u32_e64 v235, null, 0, v226, vcc_lo
	global_load_ushort v232, v[232:233], off
	global_load_dword v234, v[234:235], off
	s_waitcnt vmcnt(1)
	v_mul_u32_u24_e32 v232, 0x10001, v232
	s_waitcnt vmcnt(0)
	v_ashrrev_i32_e32 v234, v229, v234
	v_and_b32_e32 v234, 0xf0f0f0f, v234
	v_lshrrev_b32_e32 v235, 16, v234
	v_and_b32_e32 v240, 0xf00, v235
	v_lshlrev_b16 v235, 8, v235
	v_add_nc_u16 v235, 0xf800, v235
	v_or_b32_sdwa v235, v240, v235 dst_sel:DWORD dst_unused:UNUSED_PAD src0_sel:DWORD src1_sel:BYTE_1
	v_and_b32_e32 v240, 0xf00, v234
	v_lshlrev_b16 v234, 8, v234
	v_add_nc_u16 v235, 0xf800, v235
	v_add_nc_u16 v234, 0xf800, v234
	v_or_b32_sdwa v234, v240, v234 dst_sel:DWORD dst_unused:UNUSED_PAD src0_sel:DWORD src1_sel:BYTE_1
	v_add_nc_u16 v234, 0xf800, v234
	v_lshrrev_b32_e32 v233, 8, v234
	v_cvt_f16_i16_sdwa v234, sext(v234) dst_sel:DWORD dst_unused:UNUSED_PAD src0_sel:BYTE_0
	v_cvt_f16_i16_sdwa v233, sext(v233) dst_sel:DWORD dst_unused:UNUSED_PAD src0_sel:BYTE_0
	v_pack_b32_f16 v233, v234, v233
	v_lshrrev_b32_e32 v234, 8, v235
	v_cvt_f16_i16_sdwa v235, sext(v235) dst_sel:DWORD dst_unused:UNUSED_PAD src0_sel:BYTE_0
	v_pk_mul_f16 v233, v233, v232
	v_cvt_f16_i16_sdwa v234, sext(v234) dst_sel:DWORD dst_unused:UNUSED_PAD src0_sel:BYTE_0
	v_pk_fma_f16 v236, v233, v30, v236
	v_pack_b32_f16 v234, v235, v234
	v_pk_fma_f16 v238, v233, v34, v238
	v_pk_mul_f16 v232, v234, v232
	v_pk_fma_f16 v30, v232, v30, v237
	v_pk_fma_f16 v34, v232, v34, v239
	v_add_co_u32 v232, vcc_lo, v223, s28
	v_add_co_ci_u32_e64 v233, null, 0, v224, vcc_lo
	v_add_co_u32 v234, vcc_lo, v221, s28
	v_add_co_ci_u32_e64 v235, null, 0, v222, vcc_lo
	global_load_ushort v232, v[232:233], off
	v_mul_u32_u24_sdwa v237, v31, v230 dst_sel:DWORD dst_unused:UNUSED_PAD src0_sel:WORD_0 src1_sel:DWORD
	v_mul_u32_u24_sdwa v239, v35, v230 dst_sel:DWORD dst_unused:UNUSED_PAD src0_sel:WORD_0 src1_sel:DWORD
	global_load_dword v234, v[234:235], off
	s_waitcnt vmcnt(1)
	v_mul_u32_u24_e32 v232, 0x10001, v232
	s_waitcnt vmcnt(0)
	v_ashrrev_i32_e32 v234, v229, v234
	v_and_b32_e32 v234, 0xf0f0f0f, v234
	v_lshrrev_b32_e32 v235, 16, v234
	v_and_b32_e32 v240, 0xf00, v235
	v_lshlrev_b16 v235, 8, v235
	v_add_nc_u16 v235, 0xf800, v235
	v_or_b32_sdwa v235, v240, v235 dst_sel:DWORD dst_unused:UNUSED_PAD src0_sel:DWORD src1_sel:BYTE_1
	v_and_b32_e32 v240, 0xf00, v234
	v_lshlrev_b16 v234, 8, v234
	v_add_nc_u16 v235, 0xf800, v235
	v_add_nc_u16 v234, 0xf800, v234
	v_or_b32_sdwa v234, v240, v234 dst_sel:DWORD dst_unused:UNUSED_PAD src0_sel:DWORD src1_sel:BYTE_1
	v_add_nc_u16 v234, 0xf800, v234
	v_lshrrev_b32_e32 v233, 8, v234
	v_cvt_f16_i16_sdwa v234, sext(v234) dst_sel:DWORD dst_unused:UNUSED_PAD src0_sel:BYTE_0
	v_cvt_f16_i16_sdwa v233, sext(v233) dst_sel:DWORD dst_unused:UNUSED_PAD src0_sel:BYTE_0
	v_pack_b32_f16 v233, v234, v233
	v_lshrrev_b32_e32 v234, 8, v235
	v_cvt_f16_i16_sdwa v235, sext(v235) dst_sel:DWORD dst_unused:UNUSED_PAD src0_sel:BYTE_0
	v_pk_mul_f16 v233, v233, v232
	v_cvt_f16_i16_sdwa v234, sext(v234) dst_sel:DWORD dst_unused:UNUSED_PAD src0_sel:BYTE_0
	v_pack_b32_f16 v234, v235, v234
	v_pk_mul_f16 v232, v234, v232
	v_pk_fma_f16 v234, v233, v237, v236
	v_mul_u32_u24_sdwa v236, v31, v230 dst_sel:DWORD dst_unused:UNUSED_PAD src0_sel:WORD_1 src1_sel:DWORD
	v_pk_fma_f16 v233, v233, v239, v238
	v_pk_fma_f16 v235, v232, v237, v30
	v_add_co_u32 v30, vcc_lo, v219, s28
	v_pk_fma_f16 v232, v232, v239, v34
	v_add_co_ci_u32_e64 v31, null, 0, v220, vcc_lo
	v_add_co_u32 v34, vcc_lo, v217, s28
	v_mul_u32_u24_sdwa v237, v35, v230 dst_sel:DWORD dst_unused:UNUSED_PAD src0_sel:WORD_1 src1_sel:DWORD
	v_add_co_ci_u32_e64 v35, null, 0, v218, vcc_lo
	global_load_ushort v30, v[30:31], off
	global_load_dword v34, v[34:35], off
	s_waitcnt vmcnt(1)
	v_mul_u32_u24_e32 v30, 0x10001, v30
	s_waitcnt vmcnt(0)
	v_ashrrev_i32_e32 v34, v229, v34
	v_and_b32_e32 v34, 0xf0f0f0f, v34
	v_lshrrev_b32_e32 v35, 16, v34
	v_and_b32_e32 v238, 0xf00, v35
	v_lshlrev_b16 v35, 8, v35
	v_add_nc_u16 v35, 0xf800, v35
	v_or_b32_sdwa v35, v238, v35 dst_sel:DWORD dst_unused:UNUSED_PAD src0_sel:DWORD src1_sel:BYTE_1
	v_and_b32_e32 v238, 0xf00, v34
	v_lshlrev_b16 v34, 8, v34
	v_add_nc_u16 v35, 0xf800, v35
	v_add_nc_u16 v34, 0xf800, v34
	v_or_b32_sdwa v34, v238, v34 dst_sel:DWORD dst_unused:UNUSED_PAD src0_sel:DWORD src1_sel:BYTE_1
	v_add_nc_u16 v34, 0xf800, v34
	v_lshrrev_b32_e32 v31, 8, v34
	v_cvt_f16_i16_sdwa v34, sext(v34) dst_sel:DWORD dst_unused:UNUSED_PAD src0_sel:BYTE_0
	v_cvt_f16_i16_sdwa v31, sext(v31) dst_sel:DWORD dst_unused:UNUSED_PAD src0_sel:BYTE_0
	v_pack_b32_f16 v31, v34, v31
	v_lshrrev_b32_e32 v34, 8, v35
	v_cvt_f16_i16_sdwa v35, sext(v35) dst_sel:DWORD dst_unused:UNUSED_PAD src0_sel:BYTE_0
	v_pk_mul_f16 v31, v31, v30
	v_cvt_f16_i16_sdwa v34, sext(v34) dst_sel:DWORD dst_unused:UNUSED_PAD src0_sel:BYTE_0
	v_pk_fma_f16 v234, v31, v236, v234
	v_pack_b32_f16 v34, v35, v34
	v_pk_fma_f16 v233, v31, v237, v233
	v_pk_mul_f16 v30, v34, v30
	v_pk_fma_f16 v235, v30, v236, v235
	v_pk_fma_f16 v232, v30, v237, v232
	v_add_co_u32 v30, vcc_lo, v215, s28
	v_add_co_ci_u32_e64 v31, null, 0, v216, vcc_lo
	v_add_co_u32 v34, vcc_lo, v213, s28
	v_add_co_ci_u32_e64 v35, null, 0, v214, vcc_lo
	global_load_ushort v30, v[30:31], off
	v_mul_u32_u24_sdwa v236, v32, v230 dst_sel:DWORD dst_unused:UNUSED_PAD src0_sel:WORD_0 src1_sel:DWORD
	v_mul_u32_u24_sdwa v237, v36, v230 dst_sel:DWORD dst_unused:UNUSED_PAD src0_sel:WORD_0 src1_sel:DWORD
	global_load_dword v34, v[34:35], off
	v_mul_u32_u24_sdwa v32, v32, v230 dst_sel:DWORD dst_unused:UNUSED_PAD src0_sel:WORD_1 src1_sel:DWORD
	v_mul_u32_u24_sdwa v36, v36, v230 dst_sel:DWORD dst_unused:UNUSED_PAD src0_sel:WORD_1 src1_sel:DWORD
	s_waitcnt vmcnt(1)
	v_mul_u32_u24_e32 v30, 0x10001, v30
	s_waitcnt vmcnt(0)
	v_ashrrev_i32_e32 v34, v229, v34
	v_and_b32_e32 v34, 0xf0f0f0f, v34
	v_lshrrev_b32_e32 v35, 16, v34
	v_and_b32_e32 v238, 0xf00, v35
	v_lshlrev_b16 v35, 8, v35
	v_add_nc_u16 v35, 0xf800, v35
	v_or_b32_sdwa v35, v238, v35 dst_sel:DWORD dst_unused:UNUSED_PAD src0_sel:DWORD src1_sel:BYTE_1
	v_and_b32_e32 v238, 0xf00, v34
	v_lshlrev_b16 v34, 8, v34
	v_add_nc_u16 v35, 0xf800, v35
	v_add_nc_u16 v34, 0xf800, v34
	v_or_b32_sdwa v34, v238, v34 dst_sel:DWORD dst_unused:UNUSED_PAD src0_sel:DWORD src1_sel:BYTE_1
	v_add_nc_u16 v34, 0xf800, v34
	v_lshrrev_b32_e32 v31, 8, v34
	v_cvt_f16_i16_sdwa v34, sext(v34) dst_sel:DWORD dst_unused:UNUSED_PAD src0_sel:BYTE_0
	v_cvt_f16_i16_sdwa v31, sext(v31) dst_sel:DWORD dst_unused:UNUSED_PAD src0_sel:BYTE_0
	v_pack_b32_f16 v31, v34, v31
	v_lshrrev_b32_e32 v34, 8, v35
	v_cvt_f16_i16_sdwa v35, sext(v35) dst_sel:DWORD dst_unused:UNUSED_PAD src0_sel:BYTE_0
	v_pk_mul_f16 v31, v31, v30
	v_cvt_f16_i16_sdwa v34, sext(v34) dst_sel:DWORD dst_unused:UNUSED_PAD src0_sel:BYTE_0
	v_pk_fma_f16 v234, v31, v236, v234
	v_pack_b32_f16 v34, v35, v34
	v_pk_fma_f16 v233, v31, v237, v233
	v_pk_mul_f16 v30, v34, v30
	v_pk_fma_f16 v235, v30, v236, v235
	v_pk_fma_f16 v232, v30, v237, v232
	v_add_co_u32 v30, vcc_lo, v211, s28
	v_add_co_ci_u32_e64 v31, null, 0, v212, vcc_lo
	v_add_co_u32 v34, vcc_lo, v209, s28
	v_add_co_ci_u32_e64 v35, null, 0, v210, vcc_lo
	global_load_ushort v30, v[30:31], off
	global_load_dword v34, v[34:35], off
	s_waitcnt vmcnt(1)
	v_mul_u32_u24_e32 v30, 0x10001, v30
	s_waitcnt vmcnt(0)
	v_ashrrev_i32_e32 v34, v229, v34
	v_and_b32_e32 v34, 0xf0f0f0f, v34
	v_lshrrev_b32_e32 v35, 16, v34
	v_and_b32_e32 v236, 0xf00, v35
	v_lshlrev_b16 v35, 8, v35
	v_add_nc_u16 v35, 0xf800, v35
	v_or_b32_sdwa v35, v236, v35 dst_sel:DWORD dst_unused:UNUSED_PAD src0_sel:DWORD src1_sel:BYTE_1
	v_and_b32_e32 v236, 0xf00, v34
	v_lshlrev_b16 v34, 8, v34
	v_add_nc_u16 v35, 0xf800, v35
	v_add_nc_u16 v34, 0xf800, v34
	v_or_b32_sdwa v34, v236, v34 dst_sel:DWORD dst_unused:UNUSED_PAD src0_sel:DWORD src1_sel:BYTE_1
	v_add_nc_u16 v34, 0xf800, v34
	v_lshrrev_b32_e32 v31, 8, v34
	v_cvt_f16_i16_sdwa v34, sext(v34) dst_sel:DWORD dst_unused:UNUSED_PAD src0_sel:BYTE_0
	v_cvt_f16_i16_sdwa v31, sext(v31) dst_sel:DWORD dst_unused:UNUSED_PAD src0_sel:BYTE_0
	v_pack_b32_f16 v31, v34, v31
	v_lshrrev_b32_e32 v34, 8, v35
	v_cvt_f16_i16_sdwa v35, sext(v35) dst_sel:DWORD dst_unused:UNUSED_PAD src0_sel:BYTE_0
	v_pk_mul_f16 v31, v31, v30
	v_cvt_f16_i16_sdwa v34, sext(v34) dst_sel:DWORD dst_unused:UNUSED_PAD src0_sel:BYTE_0
	v_pk_fma_f16 v234, v31, v32, v234
	v_pack_b32_f16 v34, v35, v34
	v_pk_fma_f16 v233, v31, v36, v233
	v_pk_mul_f16 v30, v34, v30
	v_pk_fma_f16 v32, v30, v32, v235
	v_pk_fma_f16 v36, v30, v36, v232
	v_add_co_u32 v30, vcc_lo, v207, s28
	v_add_co_ci_u32_e64 v31, null, 0, v208, vcc_lo
	v_add_co_u32 v34, vcc_lo, v205, s28
	v_add_co_ci_u32_e64 v35, null, 0, v206, vcc_lo
	global_load_ushort v30, v[30:31], off
	v_mul_u32_u24_sdwa v232, v33, v230 dst_sel:DWORD dst_unused:UNUSED_PAD src0_sel:WORD_0 src1_sel:DWORD
	v_mul_u32_u24_sdwa v235, v37, v230 dst_sel:DWORD dst_unused:UNUSED_PAD src0_sel:WORD_0 src1_sel:DWORD
	global_load_dword v34, v[34:35], off
	v_mul_u32_u24_sdwa v37, v37, v230 dst_sel:DWORD dst_unused:UNUSED_PAD src0_sel:WORD_1 src1_sel:DWORD
	s_waitcnt vmcnt(1)
	v_mul_u32_u24_e32 v30, 0x10001, v30
	s_waitcnt vmcnt(0)
	v_ashrrev_i32_e32 v34, v229, v34
	v_and_b32_e32 v34, 0xf0f0f0f, v34
	v_lshrrev_b32_e32 v35, 16, v34
	v_and_b32_e32 v236, 0xf00, v35
	v_lshlrev_b16 v35, 8, v35
	v_add_nc_u16 v35, 0xf800, v35
	v_or_b32_sdwa v35, v236, v35 dst_sel:DWORD dst_unused:UNUSED_PAD src0_sel:DWORD src1_sel:BYTE_1
	v_and_b32_e32 v236, 0xf00, v34
	v_lshlrev_b16 v34, 8, v34
	v_add_nc_u16 v35, 0xf800, v35
	v_add_nc_u16 v34, 0xf800, v34
	v_or_b32_sdwa v34, v236, v34 dst_sel:DWORD dst_unused:UNUSED_PAD src0_sel:DWORD src1_sel:BYTE_1
	v_mul_u32_u24_sdwa v236, v26, v230 dst_sel:DWORD dst_unused:UNUSED_PAD src0_sel:WORD_0 src1_sel:DWORD
	v_mul_u32_u24_sdwa v26, v26, v230 dst_sel:DWORD dst_unused:UNUSED_PAD src0_sel:WORD_1 src1_sel:DWORD
	v_add_nc_u16 v34, 0xf800, v34
	v_lshrrev_b32_e32 v31, 8, v34
	v_cvt_f16_i16_sdwa v34, sext(v34) dst_sel:DWORD dst_unused:UNUSED_PAD src0_sel:BYTE_0
	v_cvt_f16_i16_sdwa v31, sext(v31) dst_sel:DWORD dst_unused:UNUSED_PAD src0_sel:BYTE_0
	v_pack_b32_f16 v31, v34, v31
	v_lshrrev_b32_e32 v34, 8, v35
	v_cvt_f16_i16_sdwa v35, sext(v35) dst_sel:DWORD dst_unused:UNUSED_PAD src0_sel:BYTE_0
	v_pk_mul_f16 v31, v31, v30
	v_cvt_f16_i16_sdwa v34, sext(v34) dst_sel:DWORD dst_unused:UNUSED_PAD src0_sel:BYTE_0
	v_pack_b32_f16 v34, v35, v34
	v_pk_fma_f16 v35, v31, v235, v233
	v_mul_u32_u24_sdwa v233, v33, v230 dst_sel:DWORD dst_unused:UNUSED_PAD src0_sel:WORD_1 src1_sel:DWORD
	v_pk_mul_f16 v30, v34, v30
	v_pk_fma_f16 v34, v31, v232, v234
	v_pk_fma_f16 v232, v30, v232, v32
	;; [unrolled: 1-line block ×3, first 2 shown]
	v_add_co_u32 v30, vcc_lo, v203, s28
	v_add_co_ci_u32_e64 v31, null, 0, v204, vcc_lo
	v_add_co_u32 v32, vcc_lo, v201, s28
	v_add_co_ci_u32_e64 v33, null, 0, v202, vcc_lo
	global_load_ushort v30, v[30:31], off
	global_load_dword v32, v[32:33], off
	s_waitcnt vmcnt(1)
	v_mul_u32_u24_e32 v30, 0x10001, v30
	s_waitcnt vmcnt(0)
	v_ashrrev_i32_e32 v32, v229, v32
	v_and_b32_e32 v32, 0xf0f0f0f, v32
	v_lshrrev_b32_e32 v33, 16, v32
	v_and_b32_e32 v234, 0xf00, v33
	v_lshlrev_b16 v33, 8, v33
	v_add_nc_u16 v33, 0xf800, v33
	v_or_b32_sdwa v33, v234, v33 dst_sel:DWORD dst_unused:UNUSED_PAD src0_sel:DWORD src1_sel:BYTE_1
	v_and_b32_e32 v234, 0xf00, v32
	v_lshlrev_b16 v32, 8, v32
	v_add_nc_u16 v33, 0xf800, v33
	v_add_nc_u16 v32, 0xf800, v32
	v_or_b32_sdwa v32, v234, v32 dst_sel:DWORD dst_unused:UNUSED_PAD src0_sel:DWORD src1_sel:BYTE_1
	v_add_nc_u16 v32, 0xf800, v32
	v_lshrrev_b32_e32 v31, 8, v32
	v_cvt_f16_i16_sdwa v32, sext(v32) dst_sel:DWORD dst_unused:UNUSED_PAD src0_sel:BYTE_0
	v_cvt_f16_i16_sdwa v31, sext(v31) dst_sel:DWORD dst_unused:UNUSED_PAD src0_sel:BYTE_0
	v_pack_b32_f16 v31, v32, v31
	v_lshrrev_b32_e32 v32, 8, v33
	v_cvt_f16_i16_sdwa v33, sext(v33) dst_sel:DWORD dst_unused:UNUSED_PAD src0_sel:BYTE_0
	v_pk_mul_f16 v31, v31, v30
	v_cvt_f16_i16_sdwa v32, sext(v32) dst_sel:DWORD dst_unused:UNUSED_PAD src0_sel:BYTE_0
	v_pk_fma_f16 v234, v31, v233, v34
	v_pack_b32_f16 v32, v33, v32
	v_add_co_u32 v34, vcc_lo, v199, s28
	v_pk_fma_f16 v235, v31, v37, v35
	v_add_co_ci_u32_e64 v35, null, 0, v200, vcc_lo
	v_pk_mul_f16 v30, v32, v30
	global_load_ushort v34, v[34:35], off
	v_pk_fma_f16 v232, v30, v233, v232
	v_pk_fma_f16 v233, v30, v37, v36
	v_add_co_u32 v36, vcc_lo, v197, s28
	v_add_co_ci_u32_e64 v37, null, 0, v198, vcc_lo
	ds_read_b128 v[30:33], v88 offset:272
	global_load_dword v36, v[36:37], off
	s_waitcnt lgkmcnt(0)
	v_mul_u32_u24_sdwa v237, v30, v230 dst_sel:DWORD dst_unused:UNUSED_PAD src0_sel:WORD_0 src1_sel:DWORD
	v_mul_u32_u24_sdwa v30, v30, v230 dst_sel:DWORD dst_unused:UNUSED_PAD src0_sel:WORD_1 src1_sel:DWORD
	s_waitcnt vmcnt(1)
	v_mul_u32_u24_e32 v34, 0x10001, v34
	s_waitcnt vmcnt(0)
	v_ashrrev_i32_e32 v36, v229, v36
	v_and_b32_e32 v36, 0xf0f0f0f, v36
	v_lshrrev_b32_e32 v37, 16, v36
	v_and_b32_e32 v238, 0xf00, v37
	v_lshlrev_b16 v37, 8, v37
	v_add_nc_u16 v37, 0xf800, v37
	v_or_b32_sdwa v37, v238, v37 dst_sel:DWORD dst_unused:UNUSED_PAD src0_sel:DWORD src1_sel:BYTE_1
	v_and_b32_e32 v238, 0xf00, v36
	v_lshlrev_b16 v36, 8, v36
	v_add_nc_u16 v37, 0xf800, v37
	v_add_nc_u16 v36, 0xf800, v36
	v_or_b32_sdwa v36, v238, v36 dst_sel:DWORD dst_unused:UNUSED_PAD src0_sel:DWORD src1_sel:BYTE_1
	v_add_nc_u16 v36, 0xf800, v36
	v_lshrrev_b32_e32 v35, 8, v36
	v_cvt_f16_i16_sdwa v36, sext(v36) dst_sel:DWORD dst_unused:UNUSED_PAD src0_sel:BYTE_0
	v_cvt_f16_i16_sdwa v35, sext(v35) dst_sel:DWORD dst_unused:UNUSED_PAD src0_sel:BYTE_0
	v_pack_b32_f16 v35, v36, v35
	v_lshrrev_b32_e32 v36, 8, v37
	v_cvt_f16_i16_sdwa v37, sext(v37) dst_sel:DWORD dst_unused:UNUSED_PAD src0_sel:BYTE_0
	v_pk_mul_f16 v35, v35, v34
	v_cvt_f16_i16_sdwa v36, sext(v36) dst_sel:DWORD dst_unused:UNUSED_PAD src0_sel:BYTE_0
	v_pk_fma_f16 v234, v35, v236, v234
	v_pack_b32_f16 v36, v37, v36
	v_pk_fma_f16 v235, v35, v237, v235
	v_pk_mul_f16 v34, v36, v34
	v_pk_fma_f16 v232, v34, v236, v232
	v_pk_fma_f16 v233, v34, v237, v233
	v_add_co_u32 v34, vcc_lo, v195, s28
	v_add_co_ci_u32_e64 v35, null, 0, v196, vcc_lo
	v_add_co_u32 v36, vcc_lo, v193, s28
	v_add_co_ci_u32_e64 v37, null, 0, v194, vcc_lo
	global_load_ushort v34, v[34:35], off
	global_load_dword v36, v[36:37], off
	s_waitcnt vmcnt(1)
	v_mul_u32_u24_e32 v34, 0x10001, v34
	s_waitcnt vmcnt(0)
	v_ashrrev_i32_e32 v36, v229, v36
	v_and_b32_e32 v36, 0xf0f0f0f, v36
	v_lshrrev_b32_e32 v37, 16, v36
	v_and_b32_e32 v236, 0xf00, v37
	v_lshlrev_b16 v37, 8, v37
	v_add_nc_u16 v37, 0xf800, v37
	v_or_b32_sdwa v37, v236, v37 dst_sel:DWORD dst_unused:UNUSED_PAD src0_sel:DWORD src1_sel:BYTE_1
	v_and_b32_e32 v236, 0xf00, v36
	v_lshlrev_b16 v36, 8, v36
	v_add_nc_u16 v37, 0xf800, v37
	v_add_nc_u16 v36, 0xf800, v36
	v_or_b32_sdwa v36, v236, v36 dst_sel:DWORD dst_unused:UNUSED_PAD src0_sel:DWORD src1_sel:BYTE_1
	v_add_nc_u16 v36, 0xf800, v36
	v_lshrrev_b32_e32 v35, 8, v36
	v_cvt_f16_i16_sdwa v36, sext(v36) dst_sel:DWORD dst_unused:UNUSED_PAD src0_sel:BYTE_0
	v_cvt_f16_i16_sdwa v35, sext(v35) dst_sel:DWORD dst_unused:UNUSED_PAD src0_sel:BYTE_0
	v_pack_b32_f16 v35, v36, v35
	v_lshrrev_b32_e32 v36, 8, v37
	v_cvt_f16_i16_sdwa v37, sext(v37) dst_sel:DWORD dst_unused:UNUSED_PAD src0_sel:BYTE_0
	v_pk_mul_f16 v35, v35, v34
	v_cvt_f16_i16_sdwa v36, sext(v36) dst_sel:DWORD dst_unused:UNUSED_PAD src0_sel:BYTE_0
	v_pk_fma_f16 v234, v35, v26, v234
	v_pack_b32_f16 v36, v37, v36
	v_pk_fma_f16 v235, v35, v30, v235
	v_pk_mul_f16 v34, v36, v34
	v_pk_fma_f16 v26, v34, v26, v232
	v_pk_fma_f16 v30, v34, v30, v233
	v_add_co_u32 v34, vcc_lo, v191, s28
	v_add_co_ci_u32_e64 v35, null, 0, v192, vcc_lo
	v_add_co_u32 v36, vcc_lo, v189, s28
	v_add_co_ci_u32_e64 v37, null, 0, v190, vcc_lo
	global_load_ushort v34, v[34:35], off
	v_mul_u32_u24_sdwa v232, v27, v230 dst_sel:DWORD dst_unused:UNUSED_PAD src0_sel:WORD_0 src1_sel:DWORD
	v_mul_u32_u24_sdwa v233, v31, v230 dst_sel:DWORD dst_unused:UNUSED_PAD src0_sel:WORD_0 src1_sel:DWORD
	global_load_dword v36, v[36:37], off
	s_waitcnt vmcnt(1)
	v_mul_u32_u24_e32 v34, 0x10001, v34
	s_waitcnt vmcnt(0)
	v_ashrrev_i32_e32 v36, v229, v36
	v_and_b32_e32 v36, 0xf0f0f0f, v36
	v_lshrrev_b32_e32 v37, 16, v36
	v_and_b32_e32 v236, 0xf00, v37
	v_lshlrev_b16 v37, 8, v37
	v_add_nc_u16 v37, 0xf800, v37
	v_or_b32_sdwa v37, v236, v37 dst_sel:DWORD dst_unused:UNUSED_PAD src0_sel:DWORD src1_sel:BYTE_1
	v_and_b32_e32 v236, 0xf00, v36
	v_lshlrev_b16 v36, 8, v36
	v_add_nc_u16 v37, 0xf800, v37
	v_add_nc_u16 v36, 0xf800, v36
	v_or_b32_sdwa v36, v236, v36 dst_sel:DWORD dst_unused:UNUSED_PAD src0_sel:DWORD src1_sel:BYTE_1
	v_add_nc_u16 v36, 0xf800, v36
	v_lshrrev_b32_e32 v35, 8, v36
	v_cvt_f16_i16_sdwa v36, sext(v36) dst_sel:DWORD dst_unused:UNUSED_PAD src0_sel:BYTE_0
	v_cvt_f16_i16_sdwa v35, sext(v35) dst_sel:DWORD dst_unused:UNUSED_PAD src0_sel:BYTE_0
	v_pack_b32_f16 v35, v36, v35
	v_lshrrev_b32_e32 v36, 8, v37
	v_cvt_f16_i16_sdwa v37, sext(v37) dst_sel:DWORD dst_unused:UNUSED_PAD src0_sel:BYTE_0
	v_pk_mul_f16 v35, v35, v34
	v_cvt_f16_i16_sdwa v36, sext(v36) dst_sel:DWORD dst_unused:UNUSED_PAD src0_sel:BYTE_0
	v_pack_b32_f16 v36, v37, v36
	v_pk_mul_f16 v34, v36, v34
	v_pk_fma_f16 v36, v35, v232, v234
	v_pk_fma_f16 v35, v35, v233, v235
	;; [unrolled: 1-line block ×3, first 2 shown]
	v_add_co_u32 v26, vcc_lo, v187, s28
	v_pk_fma_f16 v34, v34, v233, v30
	v_mul_u32_u24_sdwa v232, v27, v230 dst_sel:DWORD dst_unused:UNUSED_PAD src0_sel:WORD_1 src1_sel:DWORD
	v_add_co_ci_u32_e64 v27, null, 0, v188, vcc_lo
	v_add_co_u32 v30, vcc_lo, v185, s28
	v_mul_u32_u24_sdwa v233, v31, v230 dst_sel:DWORD dst_unused:UNUSED_PAD src0_sel:WORD_1 src1_sel:DWORD
	v_add_co_ci_u32_e64 v31, null, 0, v186, vcc_lo
	global_load_ushort v26, v[26:27], off
	global_load_dword v30, v[30:31], off
	s_waitcnt vmcnt(1)
	v_mul_u32_u24_e32 v26, 0x10001, v26
	s_waitcnt vmcnt(0)
	v_ashrrev_i32_e32 v30, v229, v30
	v_and_b32_e32 v30, 0xf0f0f0f, v30
	v_lshrrev_b32_e32 v31, 16, v30
	v_and_b32_e32 v234, 0xf00, v31
	v_lshlrev_b16 v31, 8, v31
	v_add_nc_u16 v31, 0xf800, v31
	v_or_b32_sdwa v31, v234, v31 dst_sel:DWORD dst_unused:UNUSED_PAD src0_sel:DWORD src1_sel:BYTE_1
	v_and_b32_e32 v234, 0xf00, v30
	v_lshlrev_b16 v30, 8, v30
	v_add_nc_u16 v31, 0xf800, v31
	v_add_nc_u16 v30, 0xf800, v30
	v_or_b32_sdwa v30, v234, v30 dst_sel:DWORD dst_unused:UNUSED_PAD src0_sel:DWORD src1_sel:BYTE_1
	v_add_nc_u16 v30, 0xf800, v30
	v_lshrrev_b32_e32 v27, 8, v30
	v_cvt_f16_i16_sdwa v30, sext(v30) dst_sel:DWORD dst_unused:UNUSED_PAD src0_sel:BYTE_0
	v_cvt_f16_i16_sdwa v27, sext(v27) dst_sel:DWORD dst_unused:UNUSED_PAD src0_sel:BYTE_0
	v_pack_b32_f16 v27, v30, v27
	v_lshrrev_b32_e32 v30, 8, v31
	v_cvt_f16_i16_sdwa v31, sext(v31) dst_sel:DWORD dst_unused:UNUSED_PAD src0_sel:BYTE_0
	v_pk_mul_f16 v27, v27, v26
	v_cvt_f16_i16_sdwa v30, sext(v30) dst_sel:DWORD dst_unused:UNUSED_PAD src0_sel:BYTE_0
	v_pk_fma_f16 v36, v27, v232, v36
	v_pack_b32_f16 v30, v31, v30
	v_pk_fma_f16 v35, v27, v233, v35
	v_pk_mul_f16 v26, v30, v26
	v_pk_fma_f16 v37, v26, v232, v37
	v_pk_fma_f16 v34, v26, v233, v34
	v_add_co_u32 v26, vcc_lo, v183, s28
	v_add_co_ci_u32_e64 v27, null, 0, v184, vcc_lo
	v_add_co_u32 v30, vcc_lo, v181, s28
	v_add_co_ci_u32_e64 v31, null, 0, v182, vcc_lo
	global_load_ushort v26, v[26:27], off
	v_mul_u32_u24_sdwa v232, v28, v230 dst_sel:DWORD dst_unused:UNUSED_PAD src0_sel:WORD_0 src1_sel:DWORD
	v_mul_u32_u24_sdwa v233, v32, v230 dst_sel:DWORD dst_unused:UNUSED_PAD src0_sel:WORD_0 src1_sel:DWORD
	global_load_dword v30, v[30:31], off
	v_mul_u32_u24_sdwa v28, v28, v230 dst_sel:DWORD dst_unused:UNUSED_PAD src0_sel:WORD_1 src1_sel:DWORD
	v_mul_u32_u24_sdwa v32, v32, v230 dst_sel:DWORD dst_unused:UNUSED_PAD src0_sel:WORD_1 src1_sel:DWORD
	s_waitcnt vmcnt(1)
	v_mul_u32_u24_e32 v26, 0x10001, v26
	s_waitcnt vmcnt(0)
	v_ashrrev_i32_e32 v30, v229, v30
	v_and_b32_e32 v30, 0xf0f0f0f, v30
	v_lshrrev_b32_e32 v31, 16, v30
	v_and_b32_e32 v234, 0xf00, v31
	v_lshlrev_b16 v31, 8, v31
	v_add_nc_u16 v31, 0xf800, v31
	v_or_b32_sdwa v31, v234, v31 dst_sel:DWORD dst_unused:UNUSED_PAD src0_sel:DWORD src1_sel:BYTE_1
	v_and_b32_e32 v234, 0xf00, v30
	v_lshlrev_b16 v30, 8, v30
	v_add_nc_u16 v31, 0xf800, v31
	v_add_nc_u16 v30, 0xf800, v30
	v_or_b32_sdwa v30, v234, v30 dst_sel:DWORD dst_unused:UNUSED_PAD src0_sel:DWORD src1_sel:BYTE_1
	v_add_nc_u16 v30, 0xf800, v30
	v_lshrrev_b32_e32 v27, 8, v30
	v_cvt_f16_i16_sdwa v30, sext(v30) dst_sel:DWORD dst_unused:UNUSED_PAD src0_sel:BYTE_0
	v_cvt_f16_i16_sdwa v27, sext(v27) dst_sel:DWORD dst_unused:UNUSED_PAD src0_sel:BYTE_0
	v_pack_b32_f16 v27, v30, v27
	v_lshrrev_b32_e32 v30, 8, v31
	v_cvt_f16_i16_sdwa v31, sext(v31) dst_sel:DWORD dst_unused:UNUSED_PAD src0_sel:BYTE_0
	v_pk_mul_f16 v27, v27, v26
	v_cvt_f16_i16_sdwa v30, sext(v30) dst_sel:DWORD dst_unused:UNUSED_PAD src0_sel:BYTE_0
	v_pk_fma_f16 v36, v27, v232, v36
	v_pack_b32_f16 v30, v31, v30
	v_pk_fma_f16 v35, v27, v233, v35
	v_pk_mul_f16 v26, v30, v26
	v_pk_fma_f16 v37, v26, v232, v37
	v_pk_fma_f16 v34, v26, v233, v34
	v_add_co_u32 v26, vcc_lo, v179, s28
	v_add_co_ci_u32_e64 v27, null, 0, v180, vcc_lo
	v_add_co_u32 v30, vcc_lo, v177, s28
	v_add_co_ci_u32_e64 v31, null, 0, v178, vcc_lo
	global_load_ushort v26, v[26:27], off
	global_load_dword v30, v[30:31], off
	s_waitcnt vmcnt(1)
	v_mul_u32_u24_e32 v26, 0x10001, v26
	s_waitcnt vmcnt(0)
	v_ashrrev_i32_e32 v30, v229, v30
	v_and_b32_e32 v30, 0xf0f0f0f, v30
	v_lshrrev_b32_e32 v31, 16, v30
	v_and_b32_e32 v232, 0xf00, v31
	v_lshlrev_b16 v31, 8, v31
	v_add_nc_u16 v31, 0xf800, v31
	v_or_b32_sdwa v31, v232, v31 dst_sel:DWORD dst_unused:UNUSED_PAD src0_sel:DWORD src1_sel:BYTE_1
	v_and_b32_e32 v232, 0xf00, v30
	v_lshlrev_b16 v30, 8, v30
	v_add_nc_u16 v31, 0xf800, v31
	v_add_nc_u16 v30, 0xf800, v30
	v_or_b32_sdwa v30, v232, v30 dst_sel:DWORD dst_unused:UNUSED_PAD src0_sel:DWORD src1_sel:BYTE_1
	v_add_nc_u16 v30, 0xf800, v30
	v_lshrrev_b32_e32 v27, 8, v30
	v_cvt_f16_i16_sdwa v30, sext(v30) dst_sel:DWORD dst_unused:UNUSED_PAD src0_sel:BYTE_0
	v_cvt_f16_i16_sdwa v27, sext(v27) dst_sel:DWORD dst_unused:UNUSED_PAD src0_sel:BYTE_0
	v_pack_b32_f16 v27, v30, v27
	v_lshrrev_b32_e32 v30, 8, v31
	v_cvt_f16_i16_sdwa v31, sext(v31) dst_sel:DWORD dst_unused:UNUSED_PAD src0_sel:BYTE_0
	v_pk_mul_f16 v27, v27, v26
	v_cvt_f16_i16_sdwa v30, sext(v30) dst_sel:DWORD dst_unused:UNUSED_PAD src0_sel:BYTE_0
	v_pk_fma_f16 v36, v27, v28, v36
	v_pack_b32_f16 v30, v31, v30
	v_pk_fma_f16 v35, v27, v32, v35
	v_pk_mul_f16 v26, v30, v26
	v_pk_fma_f16 v28, v26, v28, v37
	v_pk_fma_f16 v32, v26, v32, v34
	v_add_co_u32 v26, vcc_lo, v175, s28
	v_add_co_ci_u32_e64 v27, null, 0, v176, vcc_lo
	v_add_co_u32 v30, vcc_lo, v173, s28
	v_add_co_ci_u32_e64 v31, null, 0, v174, vcc_lo
	global_load_ushort v26, v[26:27], off
	v_mul_u32_u24_sdwa v34, v29, v230 dst_sel:DWORD dst_unused:UNUSED_PAD src0_sel:WORD_0 src1_sel:DWORD
	v_mul_u32_u24_sdwa v37, v33, v230 dst_sel:DWORD dst_unused:UNUSED_PAD src0_sel:WORD_0 src1_sel:DWORD
	global_load_dword v30, v[30:31], off
	v_mul_u32_u24_sdwa v33, v33, v230 dst_sel:DWORD dst_unused:UNUSED_PAD src0_sel:WORD_1 src1_sel:DWORD
	s_waitcnt vmcnt(1)
	v_mul_u32_u24_e32 v26, 0x10001, v26
	s_waitcnt vmcnt(0)
	v_ashrrev_i32_e32 v30, v229, v30
	v_and_b32_e32 v30, 0xf0f0f0f, v30
	v_lshrrev_b32_e32 v31, 16, v30
	v_and_b32_e32 v232, 0xf00, v31
	v_lshlrev_b16 v31, 8, v31
	v_add_nc_u16 v31, 0xf800, v31
	v_or_b32_sdwa v31, v232, v31 dst_sel:DWORD dst_unused:UNUSED_PAD src0_sel:DWORD src1_sel:BYTE_1
	v_and_b32_e32 v232, 0xf00, v30
	v_lshlrev_b16 v30, 8, v30
	v_add_nc_u16 v31, 0xf800, v31
	v_add_nc_u16 v30, 0xf800, v30
	v_or_b32_sdwa v30, v232, v30 dst_sel:DWORD dst_unused:UNUSED_PAD src0_sel:DWORD src1_sel:BYTE_1
	v_mul_u32_u24_sdwa v232, v22, v230 dst_sel:DWORD dst_unused:UNUSED_PAD src0_sel:WORD_0 src1_sel:DWORD
	v_mul_u32_u24_sdwa v22, v22, v230 dst_sel:DWORD dst_unused:UNUSED_PAD src0_sel:WORD_1 src1_sel:DWORD
	v_add_nc_u16 v30, 0xf800, v30
	v_lshrrev_b32_e32 v27, 8, v30
	v_cvt_f16_i16_sdwa v30, sext(v30) dst_sel:DWORD dst_unused:UNUSED_PAD src0_sel:BYTE_0
	v_cvt_f16_i16_sdwa v27, sext(v27) dst_sel:DWORD dst_unused:UNUSED_PAD src0_sel:BYTE_0
	v_pack_b32_f16 v27, v30, v27
	v_lshrrev_b32_e32 v30, 8, v31
	v_cvt_f16_i16_sdwa v31, sext(v31) dst_sel:DWORD dst_unused:UNUSED_PAD src0_sel:BYTE_0
	v_pk_mul_f16 v27, v27, v26
	v_cvt_f16_i16_sdwa v30, sext(v30) dst_sel:DWORD dst_unused:UNUSED_PAD src0_sel:BYTE_0
	v_pack_b32_f16 v30, v31, v30
	v_pk_fma_f16 v31, v27, v37, v35
	v_mul_u32_u24_sdwa v35, v29, v230 dst_sel:DWORD dst_unused:UNUSED_PAD src0_sel:WORD_1 src1_sel:DWORD
	v_pk_mul_f16 v26, v30, v26
	v_pk_fma_f16 v30, v27, v34, v36
	v_pk_fma_f16 v34, v26, v34, v28
	;; [unrolled: 1-line block ×3, first 2 shown]
	v_add_co_u32 v26, vcc_lo, v171, s28
	v_add_co_ci_u32_e64 v27, null, 0, v172, vcc_lo
	v_add_co_u32 v28, vcc_lo, v169, s28
	v_add_co_ci_u32_e64 v29, null, 0, v170, vcc_lo
	global_load_ushort v26, v[26:27], off
	global_load_dword v28, v[28:29], off
	s_waitcnt vmcnt(1)
	v_mul_u32_u24_e32 v26, 0x10001, v26
	s_waitcnt vmcnt(0)
	v_ashrrev_i32_e32 v28, v229, v28
	v_and_b32_e32 v28, 0xf0f0f0f, v28
	v_lshrrev_b32_e32 v29, 16, v28
	v_and_b32_e32 v36, 0xf00, v29
	v_lshlrev_b16 v29, 8, v29
	v_add_nc_u16 v29, 0xf800, v29
	v_or_b32_sdwa v29, v36, v29 dst_sel:DWORD dst_unused:UNUSED_PAD src0_sel:DWORD src1_sel:BYTE_1
	v_and_b32_e32 v36, 0xf00, v28
	v_lshlrev_b16 v28, 8, v28
	v_add_nc_u16 v29, 0xf800, v29
	v_add_nc_u16 v28, 0xf800, v28
	v_or_b32_sdwa v28, v36, v28 dst_sel:DWORD dst_unused:UNUSED_PAD src0_sel:DWORD src1_sel:BYTE_1
	v_add_nc_u16 v28, 0xf800, v28
	v_lshrrev_b32_e32 v27, 8, v28
	v_cvt_f16_i16_sdwa v28, sext(v28) dst_sel:DWORD dst_unused:UNUSED_PAD src0_sel:BYTE_0
	v_cvt_f16_i16_sdwa v27, sext(v27) dst_sel:DWORD dst_unused:UNUSED_PAD src0_sel:BYTE_0
	v_pack_b32_f16 v27, v28, v27
	v_lshrrev_b32_e32 v28, 8, v29
	v_cvt_f16_i16_sdwa v29, sext(v29) dst_sel:DWORD dst_unused:UNUSED_PAD src0_sel:BYTE_0
	v_pk_mul_f16 v27, v27, v26
	v_cvt_f16_i16_sdwa v28, sext(v28) dst_sel:DWORD dst_unused:UNUSED_PAD src0_sel:BYTE_0
	v_pk_fma_f16 v36, v27, v35, v30
	v_pack_b32_f16 v28, v29, v28
	v_add_co_u32 v30, vcc_lo, v167, s28
	v_pk_fma_f16 v37, v27, v33, v31
	v_add_co_ci_u32_e64 v31, null, 0, v168, vcc_lo
	v_pk_mul_f16 v26, v28, v26
	global_load_ushort v30, v[30:31], off
	v_pk_fma_f16 v34, v26, v35, v34
	v_pk_fma_f16 v35, v26, v33, v32
	v_add_co_u32 v32, vcc_lo, v165, s28
	v_add_co_ci_u32_e64 v33, null, 0, v166, vcc_lo
	ds_read_b128 v[26:29], v88 offset:288
	global_load_dword v32, v[32:33], off
	s_waitcnt lgkmcnt(0)
	v_mul_u32_u24_sdwa v233, v26, v230 dst_sel:DWORD dst_unused:UNUSED_PAD src0_sel:WORD_0 src1_sel:DWORD
	v_mul_u32_u24_sdwa v26, v26, v230 dst_sel:DWORD dst_unused:UNUSED_PAD src0_sel:WORD_1 src1_sel:DWORD
	s_waitcnt vmcnt(1)
	v_mul_u32_u24_e32 v30, 0x10001, v30
	s_waitcnt vmcnt(0)
	v_ashrrev_i32_e32 v32, v229, v32
	v_and_b32_e32 v32, 0xf0f0f0f, v32
	v_lshrrev_b32_e32 v33, 16, v32
	v_and_b32_e32 v234, 0xf00, v33
	v_lshlrev_b16 v33, 8, v33
	v_add_nc_u16 v33, 0xf800, v33
	v_or_b32_sdwa v33, v234, v33 dst_sel:DWORD dst_unused:UNUSED_PAD src0_sel:DWORD src1_sel:BYTE_1
	v_and_b32_e32 v234, 0xf00, v32
	v_lshlrev_b16 v32, 8, v32
	v_add_nc_u16 v33, 0xf800, v33
	v_add_nc_u16 v32, 0xf800, v32
	v_or_b32_sdwa v32, v234, v32 dst_sel:DWORD dst_unused:UNUSED_PAD src0_sel:DWORD src1_sel:BYTE_1
	v_add_nc_u16 v32, 0xf800, v32
	v_lshrrev_b32_e32 v31, 8, v32
	v_cvt_f16_i16_sdwa v32, sext(v32) dst_sel:DWORD dst_unused:UNUSED_PAD src0_sel:BYTE_0
	v_cvt_f16_i16_sdwa v31, sext(v31) dst_sel:DWORD dst_unused:UNUSED_PAD src0_sel:BYTE_0
	v_pack_b32_f16 v31, v32, v31
	v_lshrrev_b32_e32 v32, 8, v33
	v_cvt_f16_i16_sdwa v33, sext(v33) dst_sel:DWORD dst_unused:UNUSED_PAD src0_sel:BYTE_0
	v_pk_mul_f16 v31, v31, v30
	v_cvt_f16_i16_sdwa v32, sext(v32) dst_sel:DWORD dst_unused:UNUSED_PAD src0_sel:BYTE_0
	v_pk_fma_f16 v36, v31, v232, v36
	v_pack_b32_f16 v32, v33, v32
	v_pk_fma_f16 v37, v31, v233, v37
	v_pk_mul_f16 v30, v32, v30
	v_pk_fma_f16 v34, v30, v232, v34
	v_pk_fma_f16 v35, v30, v233, v35
	v_add_co_u32 v30, vcc_lo, v163, s28
	v_add_co_ci_u32_e64 v31, null, 0, v164, vcc_lo
	v_add_co_u32 v32, vcc_lo, v161, s28
	v_add_co_ci_u32_e64 v33, null, 0, v162, vcc_lo
	global_load_ushort v30, v[30:31], off
	global_load_dword v32, v[32:33], off
	s_waitcnt vmcnt(1)
	v_mul_u32_u24_e32 v30, 0x10001, v30
	s_waitcnt vmcnt(0)
	v_ashrrev_i32_e32 v32, v229, v32
	v_and_b32_e32 v32, 0xf0f0f0f, v32
	v_lshrrev_b32_e32 v33, 16, v32
	v_and_b32_e32 v232, 0xf00, v33
	v_lshlrev_b16 v33, 8, v33
	v_add_nc_u16 v33, 0xf800, v33
	v_or_b32_sdwa v33, v232, v33 dst_sel:DWORD dst_unused:UNUSED_PAD src0_sel:DWORD src1_sel:BYTE_1
	v_and_b32_e32 v232, 0xf00, v32
	v_lshlrev_b16 v32, 8, v32
	v_add_nc_u16 v33, 0xf800, v33
	v_add_nc_u16 v32, 0xf800, v32
	v_or_b32_sdwa v32, v232, v32 dst_sel:DWORD dst_unused:UNUSED_PAD src0_sel:DWORD src1_sel:BYTE_1
	v_add_nc_u16 v32, 0xf800, v32
	v_lshrrev_b32_e32 v31, 8, v32
	v_cvt_f16_i16_sdwa v32, sext(v32) dst_sel:DWORD dst_unused:UNUSED_PAD src0_sel:BYTE_0
	v_cvt_f16_i16_sdwa v31, sext(v31) dst_sel:DWORD dst_unused:UNUSED_PAD src0_sel:BYTE_0
	v_pack_b32_f16 v31, v32, v31
	v_lshrrev_b32_e32 v32, 8, v33
	v_cvt_f16_i16_sdwa v33, sext(v33) dst_sel:DWORD dst_unused:UNUSED_PAD src0_sel:BYTE_0
	v_pk_mul_f16 v31, v31, v30
	v_cvt_f16_i16_sdwa v32, sext(v32) dst_sel:DWORD dst_unused:UNUSED_PAD src0_sel:BYTE_0
	v_pk_fma_f16 v36, v31, v22, v36
	v_pack_b32_f16 v32, v33, v32
	v_pk_fma_f16 v37, v31, v26, v37
	v_pk_mul_f16 v30, v32, v30
	v_pk_fma_f16 v22, v30, v22, v34
	v_pk_fma_f16 v26, v30, v26, v35
	v_add_co_u32 v30, vcc_lo, v159, s28
	v_add_co_ci_u32_e64 v31, null, 0, v160, vcc_lo
	v_add_co_u32 v32, vcc_lo, v157, s28
	v_add_co_ci_u32_e64 v33, null, 0, v158, vcc_lo
	global_load_ushort v30, v[30:31], off
	v_mul_u32_u24_sdwa v34, v23, v230 dst_sel:DWORD dst_unused:UNUSED_PAD src0_sel:WORD_0 src1_sel:DWORD
	v_mul_u32_u24_sdwa v35, v27, v230 dst_sel:DWORD dst_unused:UNUSED_PAD src0_sel:WORD_0 src1_sel:DWORD
	global_load_dword v32, v[32:33], off
	s_waitcnt vmcnt(1)
	v_mul_u32_u24_e32 v30, 0x10001, v30
	s_waitcnt vmcnt(0)
	v_ashrrev_i32_e32 v32, v229, v32
	v_and_b32_e32 v32, 0xf0f0f0f, v32
	v_lshrrev_b32_e32 v33, 16, v32
	v_and_b32_e32 v232, 0xf00, v33
	v_lshlrev_b16 v33, 8, v33
	v_add_nc_u16 v33, 0xf800, v33
	v_or_b32_sdwa v33, v232, v33 dst_sel:DWORD dst_unused:UNUSED_PAD src0_sel:DWORD src1_sel:BYTE_1
	v_and_b32_e32 v232, 0xf00, v32
	v_lshlrev_b16 v32, 8, v32
	v_add_nc_u16 v33, 0xf800, v33
	v_add_nc_u16 v32, 0xf800, v32
	v_or_b32_sdwa v32, v232, v32 dst_sel:DWORD dst_unused:UNUSED_PAD src0_sel:DWORD src1_sel:BYTE_1
	v_add_nc_u16 v32, 0xf800, v32
	v_lshrrev_b32_e32 v31, 8, v32
	v_cvt_f16_i16_sdwa v32, sext(v32) dst_sel:DWORD dst_unused:UNUSED_PAD src0_sel:BYTE_0
	v_cvt_f16_i16_sdwa v31, sext(v31) dst_sel:DWORD dst_unused:UNUSED_PAD src0_sel:BYTE_0
	v_pack_b32_f16 v31, v32, v31
	v_lshrrev_b32_e32 v32, 8, v33
	v_cvt_f16_i16_sdwa v33, sext(v33) dst_sel:DWORD dst_unused:UNUSED_PAD src0_sel:BYTE_0
	v_pk_mul_f16 v31, v31, v30
	v_cvt_f16_i16_sdwa v32, sext(v32) dst_sel:DWORD dst_unused:UNUSED_PAD src0_sel:BYTE_0
	v_pack_b32_f16 v32, v33, v32
	v_pk_mul_f16 v30, v32, v30
	v_pk_fma_f16 v32, v31, v34, v36
	v_pk_fma_f16 v31, v31, v35, v37
	;; [unrolled: 1-line block ×3, first 2 shown]
	v_add_co_u32 v22, vcc_lo, v155, s28
	v_pk_fma_f16 v30, v30, v35, v26
	v_mul_u32_u24_sdwa v34, v23, v230 dst_sel:DWORD dst_unused:UNUSED_PAD src0_sel:WORD_1 src1_sel:DWORD
	v_add_co_ci_u32_e64 v23, null, 0, v156, vcc_lo
	v_add_co_u32 v26, vcc_lo, v153, s28
	v_mul_u32_u24_sdwa v35, v27, v230 dst_sel:DWORD dst_unused:UNUSED_PAD src0_sel:WORD_1 src1_sel:DWORD
	v_add_co_ci_u32_e64 v27, null, 0, v154, vcc_lo
	global_load_ushort v22, v[22:23], off
	global_load_dword v26, v[26:27], off
	s_waitcnt vmcnt(1)
	v_mul_u32_u24_e32 v22, 0x10001, v22
	s_waitcnt vmcnt(0)
	v_ashrrev_i32_e32 v26, v229, v26
	v_and_b32_e32 v26, 0xf0f0f0f, v26
	v_lshrrev_b32_e32 v27, 16, v26
	v_and_b32_e32 v36, 0xf00, v27
	v_lshlrev_b16 v27, 8, v27
	v_add_nc_u16 v27, 0xf800, v27
	v_or_b32_sdwa v27, v36, v27 dst_sel:DWORD dst_unused:UNUSED_PAD src0_sel:DWORD src1_sel:BYTE_1
	v_and_b32_e32 v36, 0xf00, v26
	v_lshlrev_b16 v26, 8, v26
	v_add_nc_u16 v27, 0xf800, v27
	v_add_nc_u16 v26, 0xf800, v26
	v_or_b32_sdwa v26, v36, v26 dst_sel:DWORD dst_unused:UNUSED_PAD src0_sel:DWORD src1_sel:BYTE_1
	v_add_nc_u16 v26, 0xf800, v26
	v_lshrrev_b32_e32 v23, 8, v26
	v_cvt_f16_i16_sdwa v26, sext(v26) dst_sel:DWORD dst_unused:UNUSED_PAD src0_sel:BYTE_0
	v_cvt_f16_i16_sdwa v23, sext(v23) dst_sel:DWORD dst_unused:UNUSED_PAD src0_sel:BYTE_0
	v_pack_b32_f16 v23, v26, v23
	v_lshrrev_b32_e32 v26, 8, v27
	v_cvt_f16_i16_sdwa v27, sext(v27) dst_sel:DWORD dst_unused:UNUSED_PAD src0_sel:BYTE_0
	v_pk_mul_f16 v23, v23, v22
	v_cvt_f16_i16_sdwa v26, sext(v26) dst_sel:DWORD dst_unused:UNUSED_PAD src0_sel:BYTE_0
	v_pk_fma_f16 v32, v23, v34, v32
	v_pack_b32_f16 v26, v27, v26
	v_pk_fma_f16 v31, v23, v35, v31
	v_pk_mul_f16 v22, v26, v22
	v_pk_fma_f16 v33, v22, v34, v33
	v_pk_fma_f16 v30, v22, v35, v30
	v_add_co_u32 v22, vcc_lo, v151, s28
	v_add_co_ci_u32_e64 v23, null, 0, v152, vcc_lo
	v_add_co_u32 v26, vcc_lo, v149, s28
	v_add_co_ci_u32_e64 v27, null, 0, v150, vcc_lo
	global_load_ushort v22, v[22:23], off
	v_mul_u32_u24_sdwa v34, v24, v230 dst_sel:DWORD dst_unused:UNUSED_PAD src0_sel:WORD_0 src1_sel:DWORD
	v_mul_u32_u24_sdwa v35, v28, v230 dst_sel:DWORD dst_unused:UNUSED_PAD src0_sel:WORD_0 src1_sel:DWORD
	global_load_dword v26, v[26:27], off
	v_mul_u32_u24_sdwa v24, v24, v230 dst_sel:DWORD dst_unused:UNUSED_PAD src0_sel:WORD_1 src1_sel:DWORD
	v_mul_u32_u24_sdwa v28, v28, v230 dst_sel:DWORD dst_unused:UNUSED_PAD src0_sel:WORD_1 src1_sel:DWORD
	s_waitcnt vmcnt(1)
	v_mul_u32_u24_e32 v22, 0x10001, v22
	s_waitcnt vmcnt(0)
	v_ashrrev_i32_e32 v26, v229, v26
	v_and_b32_e32 v26, 0xf0f0f0f, v26
	v_lshrrev_b32_e32 v27, 16, v26
	v_and_b32_e32 v36, 0xf00, v27
	v_lshlrev_b16 v27, 8, v27
	v_add_nc_u16 v27, 0xf800, v27
	v_or_b32_sdwa v27, v36, v27 dst_sel:DWORD dst_unused:UNUSED_PAD src0_sel:DWORD src1_sel:BYTE_1
	v_and_b32_e32 v36, 0xf00, v26
	v_lshlrev_b16 v26, 8, v26
	v_add_nc_u16 v27, 0xf800, v27
	v_add_nc_u16 v26, 0xf800, v26
	v_or_b32_sdwa v26, v36, v26 dst_sel:DWORD dst_unused:UNUSED_PAD src0_sel:DWORD src1_sel:BYTE_1
	v_add_nc_u16 v26, 0xf800, v26
	v_lshrrev_b32_e32 v23, 8, v26
	v_cvt_f16_i16_sdwa v26, sext(v26) dst_sel:DWORD dst_unused:UNUSED_PAD src0_sel:BYTE_0
	v_cvt_f16_i16_sdwa v23, sext(v23) dst_sel:DWORD dst_unused:UNUSED_PAD src0_sel:BYTE_0
	v_pack_b32_f16 v23, v26, v23
	v_lshrrev_b32_e32 v26, 8, v27
	v_cvt_f16_i16_sdwa v27, sext(v27) dst_sel:DWORD dst_unused:UNUSED_PAD src0_sel:BYTE_0
	v_pk_mul_f16 v23, v23, v22
	v_cvt_f16_i16_sdwa v26, sext(v26) dst_sel:DWORD dst_unused:UNUSED_PAD src0_sel:BYTE_0
	v_pk_fma_f16 v32, v23, v34, v32
	v_pack_b32_f16 v26, v27, v26
	v_pk_fma_f16 v31, v23, v35, v31
	v_pk_mul_f16 v22, v26, v22
	v_pk_fma_f16 v33, v22, v34, v33
	v_pk_fma_f16 v30, v22, v35, v30
	v_add_co_u32 v22, vcc_lo, v147, s28
	v_add_co_ci_u32_e64 v23, null, 0, v148, vcc_lo
	v_add_co_u32 v26, vcc_lo, v145, s28
	v_add_co_ci_u32_e64 v27, null, 0, v146, vcc_lo
	global_load_ushort v22, v[22:23], off
	global_load_dword v26, v[26:27], off
	s_waitcnt vmcnt(1)
	v_mul_u32_u24_e32 v22, 0x10001, v22
	s_waitcnt vmcnt(0)
	v_ashrrev_i32_e32 v26, v229, v26
	v_and_b32_e32 v26, 0xf0f0f0f, v26
	v_lshrrev_b32_e32 v27, 16, v26
	v_and_b32_e32 v34, 0xf00, v27
	v_lshlrev_b16 v27, 8, v27
	v_add_nc_u16 v27, 0xf800, v27
	v_or_b32_sdwa v27, v34, v27 dst_sel:DWORD dst_unused:UNUSED_PAD src0_sel:DWORD src1_sel:BYTE_1
	v_and_b32_e32 v34, 0xf00, v26
	v_lshlrev_b16 v26, 8, v26
	v_add_nc_u16 v27, 0xf800, v27
	v_add_nc_u16 v26, 0xf800, v26
	v_or_b32_sdwa v26, v34, v26 dst_sel:DWORD dst_unused:UNUSED_PAD src0_sel:DWORD src1_sel:BYTE_1
	v_add_nc_u16 v26, 0xf800, v26
	v_lshrrev_b32_e32 v23, 8, v26
	v_cvt_f16_i16_sdwa v26, sext(v26) dst_sel:DWORD dst_unused:UNUSED_PAD src0_sel:BYTE_0
	v_cvt_f16_i16_sdwa v23, sext(v23) dst_sel:DWORD dst_unused:UNUSED_PAD src0_sel:BYTE_0
	v_pack_b32_f16 v23, v26, v23
	v_lshrrev_b32_e32 v26, 8, v27
	v_cvt_f16_i16_sdwa v27, sext(v27) dst_sel:DWORD dst_unused:UNUSED_PAD src0_sel:BYTE_0
	v_pk_mul_f16 v23, v23, v22
	v_cvt_f16_i16_sdwa v26, sext(v26) dst_sel:DWORD dst_unused:UNUSED_PAD src0_sel:BYTE_0
	v_pk_fma_f16 v32, v23, v24, v32
	v_pack_b32_f16 v26, v27, v26
	v_pk_fma_f16 v31, v23, v28, v31
	v_pk_mul_f16 v22, v26, v22
	v_pk_fma_f16 v24, v22, v24, v33
	v_pk_fma_f16 v28, v22, v28, v30
	v_add_co_u32 v22, vcc_lo, v143, s28
	v_add_co_ci_u32_e64 v23, null, 0, v144, vcc_lo
	v_add_co_u32 v26, vcc_lo, v141, s28
	v_add_co_ci_u32_e64 v27, null, 0, v142, vcc_lo
	global_load_ushort v22, v[22:23], off
	v_mul_u32_u24_sdwa v30, v25, v230 dst_sel:DWORD dst_unused:UNUSED_PAD src0_sel:WORD_0 src1_sel:DWORD
	v_mul_u32_u24_sdwa v33, v29, v230 dst_sel:DWORD dst_unused:UNUSED_PAD src0_sel:WORD_0 src1_sel:DWORD
	global_load_dword v26, v[26:27], off
	v_mul_u32_u24_sdwa v29, v29, v230 dst_sel:DWORD dst_unused:UNUSED_PAD src0_sel:WORD_1 src1_sel:DWORD
	s_waitcnt vmcnt(1)
	v_mul_u32_u24_e32 v22, 0x10001, v22
	s_waitcnt vmcnt(0)
	v_ashrrev_i32_e32 v26, v229, v26
	v_and_b32_e32 v26, 0xf0f0f0f, v26
	v_lshrrev_b32_e32 v27, 16, v26
	v_and_b32_e32 v34, 0xf00, v27
	v_lshlrev_b16 v27, 8, v27
	v_add_nc_u16 v27, 0xf800, v27
	v_or_b32_sdwa v27, v34, v27 dst_sel:DWORD dst_unused:UNUSED_PAD src0_sel:DWORD src1_sel:BYTE_1
	v_and_b32_e32 v34, 0xf00, v26
	v_lshlrev_b16 v26, 8, v26
	v_add_nc_u16 v27, 0xf800, v27
	v_add_nc_u16 v26, 0xf800, v26
	v_or_b32_sdwa v26, v34, v26 dst_sel:DWORD dst_unused:UNUSED_PAD src0_sel:DWORD src1_sel:BYTE_1
	v_mul_u32_u24_sdwa v34, v18, v230 dst_sel:DWORD dst_unused:UNUSED_PAD src0_sel:WORD_0 src1_sel:DWORD
	v_mul_u32_u24_sdwa v18, v18, v230 dst_sel:DWORD dst_unused:UNUSED_PAD src0_sel:WORD_1 src1_sel:DWORD
	v_add_nc_u16 v26, 0xf800, v26
	v_lshrrev_b32_e32 v23, 8, v26
	v_cvt_f16_i16_sdwa v26, sext(v26) dst_sel:DWORD dst_unused:UNUSED_PAD src0_sel:BYTE_0
	v_cvt_f16_i16_sdwa v23, sext(v23) dst_sel:DWORD dst_unused:UNUSED_PAD src0_sel:BYTE_0
	v_pack_b32_f16 v23, v26, v23
	v_lshrrev_b32_e32 v26, 8, v27
	v_cvt_f16_i16_sdwa v27, sext(v27) dst_sel:DWORD dst_unused:UNUSED_PAD src0_sel:BYTE_0
	v_pk_mul_f16 v23, v23, v22
	v_cvt_f16_i16_sdwa v26, sext(v26) dst_sel:DWORD dst_unused:UNUSED_PAD src0_sel:BYTE_0
	v_pack_b32_f16 v26, v27, v26
	v_pk_fma_f16 v27, v23, v33, v31
	v_mul_u32_u24_sdwa v31, v25, v230 dst_sel:DWORD dst_unused:UNUSED_PAD src0_sel:WORD_1 src1_sel:DWORD
	v_pk_mul_f16 v22, v26, v22
	v_pk_fma_f16 v26, v23, v30, v32
	v_pk_fma_f16 v30, v22, v30, v24
	v_pk_fma_f16 v28, v22, v33, v28
	v_add_co_u32 v22, vcc_lo, v139, s28
	v_add_co_ci_u32_e64 v23, null, 0, v140, vcc_lo
	v_add_co_u32 v24, vcc_lo, v137, s28
	v_add_co_ci_u32_e64 v25, null, 0, v138, vcc_lo
	global_load_ushort v22, v[22:23], off
	global_load_dword v24, v[24:25], off
	s_waitcnt vmcnt(1)
	v_mul_u32_u24_e32 v22, 0x10001, v22
	s_waitcnt vmcnt(0)
	v_ashrrev_i32_e32 v24, v229, v24
	v_and_b32_e32 v24, 0xf0f0f0f, v24
	v_lshrrev_b32_e32 v25, 16, v24
	v_and_b32_e32 v32, 0xf00, v25
	v_lshlrev_b16 v25, 8, v25
	v_add_nc_u16 v25, 0xf800, v25
	v_or_b32_sdwa v25, v32, v25 dst_sel:DWORD dst_unused:UNUSED_PAD src0_sel:DWORD src1_sel:BYTE_1
	v_and_b32_e32 v32, 0xf00, v24
	v_lshlrev_b16 v24, 8, v24
	v_add_nc_u16 v25, 0xf800, v25
	v_add_nc_u16 v24, 0xf800, v24
	v_or_b32_sdwa v24, v32, v24 dst_sel:DWORD dst_unused:UNUSED_PAD src0_sel:DWORD src1_sel:BYTE_1
	v_add_nc_u16 v24, 0xf800, v24
	v_lshrrev_b32_e32 v23, 8, v24
	v_cvt_f16_i16_sdwa v24, sext(v24) dst_sel:DWORD dst_unused:UNUSED_PAD src0_sel:BYTE_0
	v_cvt_f16_i16_sdwa v23, sext(v23) dst_sel:DWORD dst_unused:UNUSED_PAD src0_sel:BYTE_0
	v_pack_b32_f16 v23, v24, v23
	v_lshrrev_b32_e32 v24, 8, v25
	v_cvt_f16_i16_sdwa v25, sext(v25) dst_sel:DWORD dst_unused:UNUSED_PAD src0_sel:BYTE_0
	v_pk_mul_f16 v23, v23, v22
	v_cvt_f16_i16_sdwa v24, sext(v24) dst_sel:DWORD dst_unused:UNUSED_PAD src0_sel:BYTE_0
	v_pk_fma_f16 v32, v23, v31, v26
	v_pack_b32_f16 v24, v25, v24
	v_add_co_u32 v26, vcc_lo, v135, s28
	v_pk_fma_f16 v33, v23, v29, v27
	v_add_co_ci_u32_e64 v27, null, 0, v136, vcc_lo
	v_pk_mul_f16 v22, v24, v22
	global_load_ushort v26, v[26:27], off
	v_pk_fma_f16 v30, v22, v31, v30
	v_pk_fma_f16 v31, v22, v29, v28
	v_add_co_u32 v28, vcc_lo, v133, s28
	v_add_co_ci_u32_e64 v29, null, 0, v134, vcc_lo
	ds_read_b128 v[22:25], v88 offset:304
	global_load_dword v28, v[28:29], off
	s_waitcnt lgkmcnt(0)
	v_mul_u32_u24_sdwa v35, v22, v230 dst_sel:DWORD dst_unused:UNUSED_PAD src0_sel:WORD_0 src1_sel:DWORD
	v_mul_u32_u24_sdwa v22, v22, v230 dst_sel:DWORD dst_unused:UNUSED_PAD src0_sel:WORD_1 src1_sel:DWORD
	s_waitcnt vmcnt(1)
	v_mul_u32_u24_e32 v26, 0x10001, v26
	s_waitcnt vmcnt(0)
	v_ashrrev_i32_e32 v28, v229, v28
	v_and_b32_e32 v28, 0xf0f0f0f, v28
	v_lshrrev_b32_e32 v29, 16, v28
	v_and_b32_e32 v36, 0xf00, v29
	v_lshlrev_b16 v29, 8, v29
	v_add_nc_u16 v29, 0xf800, v29
	v_or_b32_sdwa v29, v36, v29 dst_sel:DWORD dst_unused:UNUSED_PAD src0_sel:DWORD src1_sel:BYTE_1
	v_and_b32_e32 v36, 0xf00, v28
	v_lshlrev_b16 v28, 8, v28
	v_add_nc_u16 v29, 0xf800, v29
	v_add_nc_u16 v28, 0xf800, v28
	v_or_b32_sdwa v28, v36, v28 dst_sel:DWORD dst_unused:UNUSED_PAD src0_sel:DWORD src1_sel:BYTE_1
	v_add_nc_u16 v28, 0xf800, v28
	v_lshrrev_b32_e32 v27, 8, v28
	v_cvt_f16_i16_sdwa v28, sext(v28) dst_sel:DWORD dst_unused:UNUSED_PAD src0_sel:BYTE_0
	v_cvt_f16_i16_sdwa v27, sext(v27) dst_sel:DWORD dst_unused:UNUSED_PAD src0_sel:BYTE_0
	v_pack_b32_f16 v27, v28, v27
	v_lshrrev_b32_e32 v28, 8, v29
	v_cvt_f16_i16_sdwa v29, sext(v29) dst_sel:DWORD dst_unused:UNUSED_PAD src0_sel:BYTE_0
	v_pk_mul_f16 v27, v27, v26
	v_cvt_f16_i16_sdwa v28, sext(v28) dst_sel:DWORD dst_unused:UNUSED_PAD src0_sel:BYTE_0
	v_pk_fma_f16 v32, v27, v34, v32
	v_pack_b32_f16 v28, v29, v28
	v_pk_fma_f16 v33, v27, v35, v33
	v_pk_mul_f16 v26, v28, v26
	v_pk_fma_f16 v30, v26, v34, v30
	v_pk_fma_f16 v31, v26, v35, v31
	v_add_co_u32 v26, vcc_lo, v131, s28
	v_add_co_ci_u32_e64 v27, null, 0, v132, vcc_lo
	v_add_co_u32 v28, vcc_lo, v129, s28
	v_add_co_ci_u32_e64 v29, null, 0, v130, vcc_lo
	global_load_ushort v26, v[26:27], off
	global_load_dword v28, v[28:29], off
	s_waitcnt vmcnt(1)
	v_mul_u32_u24_e32 v26, 0x10001, v26
	s_waitcnt vmcnt(0)
	v_ashrrev_i32_e32 v28, v229, v28
	v_and_b32_e32 v28, 0xf0f0f0f, v28
	v_lshrrev_b32_e32 v29, 16, v28
	v_and_b32_e32 v34, 0xf00, v29
	v_lshlrev_b16 v29, 8, v29
	v_add_nc_u16 v29, 0xf800, v29
	v_or_b32_sdwa v29, v34, v29 dst_sel:DWORD dst_unused:UNUSED_PAD src0_sel:DWORD src1_sel:BYTE_1
	v_and_b32_e32 v34, 0xf00, v28
	v_lshlrev_b16 v28, 8, v28
	v_add_nc_u16 v29, 0xf800, v29
	v_add_nc_u16 v28, 0xf800, v28
	v_or_b32_sdwa v28, v34, v28 dst_sel:DWORD dst_unused:UNUSED_PAD src0_sel:DWORD src1_sel:BYTE_1
	v_add_nc_u16 v28, 0xf800, v28
	v_lshrrev_b32_e32 v27, 8, v28
	v_cvt_f16_i16_sdwa v28, sext(v28) dst_sel:DWORD dst_unused:UNUSED_PAD src0_sel:BYTE_0
	v_cvt_f16_i16_sdwa v27, sext(v27) dst_sel:DWORD dst_unused:UNUSED_PAD src0_sel:BYTE_0
	v_pack_b32_f16 v27, v28, v27
	v_lshrrev_b32_e32 v28, 8, v29
	v_cvt_f16_i16_sdwa v29, sext(v29) dst_sel:DWORD dst_unused:UNUSED_PAD src0_sel:BYTE_0
	v_pk_mul_f16 v27, v27, v26
	v_cvt_f16_i16_sdwa v28, sext(v28) dst_sel:DWORD dst_unused:UNUSED_PAD src0_sel:BYTE_0
	v_pk_fma_f16 v32, v27, v18, v32
	v_pack_b32_f16 v28, v29, v28
	v_pk_fma_f16 v33, v27, v22, v33
	v_pk_mul_f16 v26, v28, v26
	v_pk_fma_f16 v18, v26, v18, v30
	v_pk_fma_f16 v22, v26, v22, v31
	v_add_co_u32 v26, vcc_lo, v127, s28
	v_add_co_ci_u32_e64 v27, null, 0, v128, vcc_lo
	v_add_co_u32 v28, vcc_lo, v125, s28
	v_add_co_ci_u32_e64 v29, null, 0, v126, vcc_lo
	global_load_ushort v26, v[26:27], off
	v_mul_u32_u24_sdwa v30, v19, v230 dst_sel:DWORD dst_unused:UNUSED_PAD src0_sel:WORD_0 src1_sel:DWORD
	v_mul_u32_u24_sdwa v31, v23, v230 dst_sel:DWORD dst_unused:UNUSED_PAD src0_sel:WORD_0 src1_sel:DWORD
	global_load_dword v28, v[28:29], off
	s_waitcnt vmcnt(1)
	v_mul_u32_u24_e32 v26, 0x10001, v26
	s_waitcnt vmcnt(0)
	v_ashrrev_i32_e32 v28, v229, v28
	v_and_b32_e32 v28, 0xf0f0f0f, v28
	v_lshrrev_b32_e32 v29, 16, v28
	v_and_b32_e32 v34, 0xf00, v29
	v_lshlrev_b16 v29, 8, v29
	v_add_nc_u16 v29, 0xf800, v29
	v_or_b32_sdwa v29, v34, v29 dst_sel:DWORD dst_unused:UNUSED_PAD src0_sel:DWORD src1_sel:BYTE_1
	v_and_b32_e32 v34, 0xf00, v28
	v_lshlrev_b16 v28, 8, v28
	v_add_nc_u16 v29, 0xf800, v29
	v_add_nc_u16 v28, 0xf800, v28
	v_or_b32_sdwa v28, v34, v28 dst_sel:DWORD dst_unused:UNUSED_PAD src0_sel:DWORD src1_sel:BYTE_1
	v_add_nc_u16 v28, 0xf800, v28
	v_lshrrev_b32_e32 v27, 8, v28
	v_cvt_f16_i16_sdwa v28, sext(v28) dst_sel:DWORD dst_unused:UNUSED_PAD src0_sel:BYTE_0
	v_cvt_f16_i16_sdwa v27, sext(v27) dst_sel:DWORD dst_unused:UNUSED_PAD src0_sel:BYTE_0
	v_pack_b32_f16 v27, v28, v27
	v_lshrrev_b32_e32 v28, 8, v29
	v_cvt_f16_i16_sdwa v29, sext(v29) dst_sel:DWORD dst_unused:UNUSED_PAD src0_sel:BYTE_0
	v_pk_mul_f16 v27, v27, v26
	v_cvt_f16_i16_sdwa v28, sext(v28) dst_sel:DWORD dst_unused:UNUSED_PAD src0_sel:BYTE_0
	v_pack_b32_f16 v28, v29, v28
	v_pk_mul_f16 v26, v28, v26
	v_pk_fma_f16 v28, v27, v30, v32
	v_pk_fma_f16 v27, v27, v31, v33
	;; [unrolled: 1-line block ×3, first 2 shown]
	v_add_co_u32 v18, vcc_lo, v123, s28
	v_pk_fma_f16 v26, v26, v31, v22
	v_mul_u32_u24_sdwa v30, v19, v230 dst_sel:DWORD dst_unused:UNUSED_PAD src0_sel:WORD_1 src1_sel:DWORD
	v_add_co_ci_u32_e64 v19, null, 0, v124, vcc_lo
	v_add_co_u32 v22, vcc_lo, v121, s28
	v_mul_u32_u24_sdwa v31, v23, v230 dst_sel:DWORD dst_unused:UNUSED_PAD src0_sel:WORD_1 src1_sel:DWORD
	v_add_co_ci_u32_e64 v23, null, 0, v122, vcc_lo
	global_load_ushort v18, v[18:19], off
	global_load_dword v22, v[22:23], off
	s_waitcnt vmcnt(1)
	v_mul_u32_u24_e32 v18, 0x10001, v18
	s_waitcnt vmcnt(0)
	v_ashrrev_i32_e32 v22, v229, v22
	v_and_b32_e32 v22, 0xf0f0f0f, v22
	v_lshrrev_b32_e32 v23, 16, v22
	v_and_b32_e32 v32, 0xf00, v23
	v_lshlrev_b16 v23, 8, v23
	v_add_nc_u16 v23, 0xf800, v23
	v_or_b32_sdwa v23, v32, v23 dst_sel:DWORD dst_unused:UNUSED_PAD src0_sel:DWORD src1_sel:BYTE_1
	v_and_b32_e32 v32, 0xf00, v22
	v_lshlrev_b16 v22, 8, v22
	v_add_nc_u16 v23, 0xf800, v23
	v_add_nc_u16 v22, 0xf800, v22
	v_or_b32_sdwa v22, v32, v22 dst_sel:DWORD dst_unused:UNUSED_PAD src0_sel:DWORD src1_sel:BYTE_1
	v_add_nc_u16 v22, 0xf800, v22
	v_lshrrev_b32_e32 v19, 8, v22
	v_cvt_f16_i16_sdwa v22, sext(v22) dst_sel:DWORD dst_unused:UNUSED_PAD src0_sel:BYTE_0
	v_cvt_f16_i16_sdwa v19, sext(v19) dst_sel:DWORD dst_unused:UNUSED_PAD src0_sel:BYTE_0
	v_pack_b32_f16 v19, v22, v19
	v_lshrrev_b32_e32 v22, 8, v23
	v_cvt_f16_i16_sdwa v23, sext(v23) dst_sel:DWORD dst_unused:UNUSED_PAD src0_sel:BYTE_0
	v_pk_mul_f16 v19, v19, v18
	v_cvt_f16_i16_sdwa v22, sext(v22) dst_sel:DWORD dst_unused:UNUSED_PAD src0_sel:BYTE_0
	v_pk_fma_f16 v28, v19, v30, v28
	v_pack_b32_f16 v22, v23, v22
	v_pk_fma_f16 v27, v19, v31, v27
	v_pk_mul_f16 v18, v22, v18
	v_pk_fma_f16 v29, v18, v30, v29
	v_pk_fma_f16 v26, v18, v31, v26
	v_add_co_u32 v18, vcc_lo, v119, s28
	v_add_co_ci_u32_e64 v19, null, 0, v120, vcc_lo
	v_add_co_u32 v22, vcc_lo, v117, s28
	v_add_co_ci_u32_e64 v23, null, 0, v118, vcc_lo
	global_load_ushort v18, v[18:19], off
	v_mul_u32_u24_sdwa v30, v20, v230 dst_sel:DWORD dst_unused:UNUSED_PAD src0_sel:WORD_0 src1_sel:DWORD
	v_mul_u32_u24_sdwa v31, v24, v230 dst_sel:DWORD dst_unused:UNUSED_PAD src0_sel:WORD_0 src1_sel:DWORD
	global_load_dword v22, v[22:23], off
	v_mul_u32_u24_sdwa v20, v20, v230 dst_sel:DWORD dst_unused:UNUSED_PAD src0_sel:WORD_1 src1_sel:DWORD
	v_mul_u32_u24_sdwa v24, v24, v230 dst_sel:DWORD dst_unused:UNUSED_PAD src0_sel:WORD_1 src1_sel:DWORD
	s_waitcnt vmcnt(1)
	v_mul_u32_u24_e32 v18, 0x10001, v18
	s_waitcnt vmcnt(0)
	v_ashrrev_i32_e32 v22, v229, v22
	v_and_b32_e32 v22, 0xf0f0f0f, v22
	v_lshrrev_b32_e32 v23, 16, v22
	v_and_b32_e32 v32, 0xf00, v23
	v_lshlrev_b16 v23, 8, v23
	v_add_nc_u16 v23, 0xf800, v23
	v_or_b32_sdwa v23, v32, v23 dst_sel:DWORD dst_unused:UNUSED_PAD src0_sel:DWORD src1_sel:BYTE_1
	v_and_b32_e32 v32, 0xf00, v22
	v_lshlrev_b16 v22, 8, v22
	v_add_nc_u16 v23, 0xf800, v23
	v_add_nc_u16 v22, 0xf800, v22
	v_or_b32_sdwa v22, v32, v22 dst_sel:DWORD dst_unused:UNUSED_PAD src0_sel:DWORD src1_sel:BYTE_1
	v_add_nc_u16 v22, 0xf800, v22
	v_lshrrev_b32_e32 v19, 8, v22
	v_cvt_f16_i16_sdwa v22, sext(v22) dst_sel:DWORD dst_unused:UNUSED_PAD src0_sel:BYTE_0
	v_cvt_f16_i16_sdwa v19, sext(v19) dst_sel:DWORD dst_unused:UNUSED_PAD src0_sel:BYTE_0
	v_pack_b32_f16 v19, v22, v19
	v_lshrrev_b32_e32 v22, 8, v23
	v_cvt_f16_i16_sdwa v23, sext(v23) dst_sel:DWORD dst_unused:UNUSED_PAD src0_sel:BYTE_0
	v_pk_mul_f16 v19, v19, v18
	v_cvt_f16_i16_sdwa v22, sext(v22) dst_sel:DWORD dst_unused:UNUSED_PAD src0_sel:BYTE_0
	v_pk_fma_f16 v28, v19, v30, v28
	v_pack_b32_f16 v22, v23, v22
	v_pk_fma_f16 v27, v19, v31, v27
	v_pk_mul_f16 v18, v22, v18
	v_pk_fma_f16 v29, v18, v30, v29
	v_pk_fma_f16 v26, v18, v31, v26
	v_add_co_u32 v18, vcc_lo, v115, s28
	v_add_co_ci_u32_e64 v19, null, 0, v116, vcc_lo
	v_add_co_u32 v22, vcc_lo, v113, s28
	v_add_co_ci_u32_e64 v23, null, 0, v114, vcc_lo
	global_load_ushort v18, v[18:19], off
	v_mul_u32_u24_sdwa v31, v25, v230 dst_sel:DWORD dst_unused:UNUSED_PAD src0_sel:WORD_0 src1_sel:DWORD
	v_mul_u32_u24_sdwa v25, v25, v230 dst_sel:DWORD dst_unused:UNUSED_PAD src0_sel:WORD_1 src1_sel:DWORD
	global_load_dword v22, v[22:23], off
	s_waitcnt vmcnt(1)
	v_mul_u32_u24_e32 v18, 0x10001, v18
	s_waitcnt vmcnt(0)
	v_ashrrev_i32_e32 v22, v229, v22
	v_and_b32_e32 v22, 0xf0f0f0f, v22
	v_lshrrev_b32_e32 v23, 16, v22
	v_and_b32_e32 v30, 0xf00, v23
	v_lshlrev_b16 v23, 8, v23
	v_add_nc_u16 v23, 0xf800, v23
	v_or_b32_sdwa v23, v30, v23 dst_sel:DWORD dst_unused:UNUSED_PAD src0_sel:DWORD src1_sel:BYTE_1
	v_and_b32_e32 v30, 0xf00, v22
	v_lshlrev_b16 v22, 8, v22
	v_add_nc_u16 v23, 0xf800, v23
	v_add_nc_u16 v22, 0xf800, v22
	v_or_b32_sdwa v22, v30, v22 dst_sel:DWORD dst_unused:UNUSED_PAD src0_sel:DWORD src1_sel:BYTE_1
	v_mul_u32_u24_sdwa v30, v21, v230 dst_sel:DWORD dst_unused:UNUSED_PAD src0_sel:WORD_0 src1_sel:DWORD
	v_mul_u32_u24_sdwa v21, v21, v230 dst_sel:DWORD dst_unused:UNUSED_PAD src0_sel:WORD_1 src1_sel:DWORD
	v_add_nc_u16 v22, 0xf800, v22
	v_lshrrev_b32_e32 v19, 8, v22
	v_cvt_f16_i16_sdwa v22, sext(v22) dst_sel:DWORD dst_unused:UNUSED_PAD src0_sel:BYTE_0
	v_cvt_f16_i16_sdwa v19, sext(v19) dst_sel:DWORD dst_unused:UNUSED_PAD src0_sel:BYTE_0
	v_pack_b32_f16 v19, v22, v19
	v_lshrrev_b32_e32 v22, 8, v23
	v_cvt_f16_i16_sdwa v23, sext(v23) dst_sel:DWORD dst_unused:UNUSED_PAD src0_sel:BYTE_0
	v_pk_mul_f16 v19, v19, v18
	v_cvt_f16_i16_sdwa v22, sext(v22) dst_sel:DWORD dst_unused:UNUSED_PAD src0_sel:BYTE_0
	v_pk_fma_f16 v28, v19, v20, v28
	v_pack_b32_f16 v22, v23, v22
	v_pk_fma_f16 v27, v19, v24, v27
	v_pk_mul_f16 v18, v22, v18
	v_pk_fma_f16 v29, v18, v20, v29
	v_pk_fma_f16 v26, v18, v24, v26
	v_add_co_u32 v18, vcc_lo, v111, s28
	v_add_co_ci_u32_e64 v19, null, 0, v112, vcc_lo
	v_add_co_u32 v22, vcc_lo, v109, s28
	v_add_co_ci_u32_e64 v23, null, 0, v110, vcc_lo
	global_load_ushort v18, v[18:19], off
	global_load_dword v20, v[22:23], off
	s_waitcnt vmcnt(1)
	v_mul_u32_u24_e32 v18, 0x10001, v18
	s_waitcnt vmcnt(0)
	v_ashrrev_i32_e32 v20, v229, v20
	v_and_b32_e32 v20, 0xf0f0f0f, v20
	v_lshrrev_b32_e32 v22, 16, v20
	v_and_b32_e32 v23, 0xf00, v22
	v_lshlrev_b16 v22, 8, v22
	v_add_nc_u16 v22, 0xf800, v22
	v_or_b32_sdwa v22, v23, v22 dst_sel:DWORD dst_unused:UNUSED_PAD src0_sel:DWORD src1_sel:BYTE_1
	v_and_b32_e32 v23, 0xf00, v20
	v_lshlrev_b16 v20, 8, v20
	v_add_nc_u16 v22, 0xf800, v22
	v_add_nc_u16 v20, 0xf800, v20
	v_or_b32_sdwa v20, v23, v20 dst_sel:DWORD dst_unused:UNUSED_PAD src0_sel:DWORD src1_sel:BYTE_1
	v_add_nc_u16 v20, 0xf800, v20
	v_lshrrev_b32_e32 v19, 8, v20
	v_cvt_f16_i16_sdwa v20, sext(v20) dst_sel:DWORD dst_unused:UNUSED_PAD src0_sel:BYTE_0
	v_cvt_f16_i16_sdwa v19, sext(v19) dst_sel:DWORD dst_unused:UNUSED_PAD src0_sel:BYTE_0
	v_pack_b32_f16 v19, v20, v19
	v_lshrrev_b32_e32 v20, 8, v22
	v_cvt_f16_i16_sdwa v22, sext(v22) dst_sel:DWORD dst_unused:UNUSED_PAD src0_sel:BYTE_0
	v_pk_mul_f16 v19, v19, v18
	v_cvt_f16_i16_sdwa v20, sext(v20) dst_sel:DWORD dst_unused:UNUSED_PAD src0_sel:BYTE_0
	v_pk_fma_f16 v24, v19, v31, v27
	v_pack_b32_f16 v20, v22, v20
	v_pk_mul_f16 v18, v20, v18
	v_pk_fma_f16 v20, v19, v30, v28
	v_pk_fma_f16 v22, v18, v30, v29
	;; [unrolled: 1-line block ×3, first 2 shown]
	v_add_co_u32 v18, vcc_lo, v107, s28
	v_add_co_ci_u32_e64 v19, null, 0, v108, vcc_lo
	v_add_co_u32 v26, vcc_lo, v105, s28
	v_add_co_ci_u32_e64 v27, null, 0, v106, vcc_lo
	global_load_ushort v18, v[18:19], off
	v_add_co_u32 v89, vcc_lo, v89, s5
	global_load_dword v26, v[26:27], off
	v_add_co_ci_u32_e64 v90, null, 0, v90, vcc_lo
	v_add_co_u32 v79, vcc_lo, v79, s8
	v_add_co_ci_u32_e64 v80, null, s9, v80, vcc_lo
	v_add_co_u32 v91, vcc_lo, v91, s8
	;; [unrolled: 2-line block ×70, first 2 shown]
	v_add_co_ci_u32_e64 v228, null, 0, v228, vcc_lo
	s_waitcnt vmcnt(1)
	v_mul_u32_u24_e32 v18, 0x10001, v18
	s_waitcnt vmcnt(0)
	v_ashrrev_i32_e32 v26, v229, v26
	v_and_b32_e32 v26, 0xf0f0f0f, v26
	v_lshrrev_b32_e32 v27, 16, v26
	v_and_b32_e32 v28, 0xf00, v27
	v_lshlrev_b16 v27, 8, v27
	v_add_nc_u16 v27, 0xf800, v27
	v_or_b32_sdwa v27, v28, v27 dst_sel:DWORD dst_unused:UNUSED_PAD src0_sel:DWORD src1_sel:BYTE_1
	v_and_b32_e32 v28, 0xf00, v26
	v_lshlrev_b16 v26, 8, v26
	v_add_nc_u16 v27, 0xf800, v27
	v_add_nc_u16 v26, 0xf800, v26
	v_or_b32_sdwa v26, v28, v26 dst_sel:DWORD dst_unused:UNUSED_PAD src0_sel:DWORD src1_sel:BYTE_1
	v_add_nc_u16 v26, 0xf800, v26
	v_lshrrev_b32_e32 v19, 8, v26
	v_cvt_f16_i16_sdwa v26, sext(v26) dst_sel:DWORD dst_unused:UNUSED_PAD src0_sel:BYTE_0
	v_cvt_f16_i16_sdwa v19, sext(v19) dst_sel:DWORD dst_unused:UNUSED_PAD src0_sel:BYTE_0
	v_pack_b32_f16 v19, v26, v19
	v_lshrrev_b32_e32 v26, 8, v27
	v_cvt_f16_i16_sdwa v27, sext(v27) dst_sel:DWORD dst_unused:UNUSED_PAD src0_sel:BYTE_0
	v_pk_mul_f16 v19, v19, v18
	v_cvt_f16_i16_sdwa v26, sext(v26) dst_sel:DWORD dst_unused:UNUSED_PAD src0_sel:BYTE_0
	v_pack_b32_f16 v26, v27, v26
	v_pk_mul_f16 v26, v26, v18
	v_pk_fma_f16 v18, v19, v21, v20
	v_pk_fma_f16 v20, v19, v25, v24
	;; [unrolled: 1-line block ×4, first 2 shown]
	s_cbranch_scc1 .LBB19_28
; %bb.26:                               ;   in Loop: Header=BB19_17 Depth=1
	v_mov_b32_e32 v23, v70
	v_mov_b32_e32 v22, v71
	s_branch .LBB19_17
.LBB19_27:
	v_mov_b32_e32 v70, 0xfeffffff
	v_mov_b32_e32 v82, 0
	;; [unrolled: 1-line block ×4, first 2 shown]
	s_branch .LBB19_29
.LBB19_28:
	ds_write_b128 v76, v[18:21]
.LBB19_29:
	s_cmp_eq_u64 s[20:21], 0
	s_cselect_b32 s1, -1, 0
	s_cmp_lg_u32 s34, 0
	s_cselect_b32 s2, -1, 0
	s_or_b32 s1, s2, s1
	s_nor_b32 s0, s1, s0
	s_and_saveexec_b32 s1, s0
	s_cbranch_execz .LBB19_31
; %bb.30:
	s_ashr_i32 s39, s38, 31
	v_cmp_eq_u32_e32 vcc_lo, 1, v1
	s_lshl_b64 s[2:3], s[38:39], 2
	s_add_u32 s2, s20, s2
	s_addc_u32 s3, s21, s3
	v_cndmask_b32_e32 v2, v70, v71, vcc_lo
	s_load_dword s0, s[2:3], 0x0
	v_max_f32_e32 v3, v2, v2
	s_waitcnt lgkmcnt(0)
	v_max_f32_e64 v4, s0, s0
	v_max_f32_e32 v4, v4, v3
	v_sub_f32_e32 v5, s0, v4
	v_sub_f32_e32 v6, v2, v4
	v_cndmask_b32_e32 v71, v71, v4, vcc_lo
	v_mul_f32_e32 v2, 0x3fb8aa3b, v5
	v_mul_f32_e32 v3, 0x3fb8aa3b, v6
	v_cmp_ngt_f32_e64 s0, 0xc2ce8ed0, v5
	v_fma_f32 v7, 0x3fb8aa3b, v5, -v2
	v_rndne_f32_e32 v8, v2
	v_fma_f32 v9, 0x3fb8aa3b, v6, -v3
	v_rndne_f32_e32 v10, v3
	v_fmac_f32_e32 v7, 0x32a5705f, v5
	v_sub_f32_e32 v2, v2, v8
	v_fmac_f32_e32 v9, 0x32a5705f, v6
	v_sub_f32_e32 v3, v3, v10
	v_add_f32_e32 v2, v2, v7
	v_cvt_i32_f32_e32 v7, v8
	v_add_f32_e32 v3, v3, v9
	v_cvt_i32_f32_e32 v8, v10
	v_lshl_add_u32 v9, v1, 3, v76
	v_exp_f32_e32 v2, v2
	v_exp_f32_e32 v3, v3
	v_ldexp_f32 v7, v2, v7
	v_ldexp_f32 v8, v3, v8
	ds_read_b64 v[2:3], v9
	v_cndmask_b32_e64 v7, 0, v7, s0
	v_cmp_ngt_f32_e64 s0, 0xc2ce8ed0, v6
	v_cndmask_b32_e64 v8, 0, v8, s0
	v_cmp_nlt_f32_e64 s0, 0x42b17218, v5
	v_cndmask_b32_e64 v5, 0x7f800000, v7, s0
	v_cmp_nlt_f32_e64 s0, 0x42b17218, v6
	v_mov_b32_e32 v7, 0x10001
	v_cndmask_b32_e64 v6, 0x7f800000, v8, s0
	v_cmp_eq_u32_e64 s0, 0, v0
	v_cndmask_b32_e32 v8, v82, v81, vcc_lo
	v_cvt_f16_f32_e32 v10, v6
	v_cndmask_b32_e64 v5, 0, v5, s0
	v_cmp_eq_u32_e64 s0, 0, v1
	v_fmac_f32_e32 v5, v8, v6
	v_mul_u32_u24_sdwa v6, v10, v7 dst_sel:DWORD dst_unused:UNUSED_PAD src0_sel:WORD_0 src1_sel:DWORD
	v_cndmask_b32_e64 v70, v70, v4, s0
	v_cndmask_b32_e32 v81, v81, v5, vcc_lo
	s_waitcnt lgkmcnt(0)
	v_pk_mul_f16 v2, v2, v6
	v_pk_mul_f16 v3, v3, v6
	v_cndmask_b32_e64 v82, v82, v5, s0
	ds_write_b64 v9, v[2:3]
.LBB19_31:
	s_or_b32 exec_lo, exec_lo, s1
	v_add_nc_u32_e32 v4, 0x500, v74
	v_or_b32_e32 v10, 0x400, v74
	s_mov_b32 s0, exec_lo
	v_cmpx_eq_u32_e32 0, v1
	s_cbranch_execz .LBB19_33
; %bb.32:
	v_mov_b32_e32 v2, 0xfeffffff
	v_mov_b32_e32 v3, 0
	ds_write2_b32 v10, v2, v2 offset1:32
	ds_write2_b32 v4, v3, v3 offset1:32
.LBB19_33:
	s_or_b32 exec_lo, exec_lo, s0
	v_cmp_eq_u32_e64 s0, 0, v0
	s_waitcnt lgkmcnt(0)
	s_barrier
	buffer_gl0_inv
	s_and_saveexec_b32 s1, s0
; %bb.34:
	v_lshlrev_b32_e32 v2, 2, v1
	v_add_nc_u32_e32 v2, 0x400, v2
	ds_write2_b32 v2, v70, v71 offset1:32
; %bb.35:
	s_or_b32 exec_lo, exec_lo, s1
	s_cmp_lt_i32 s30, s36
	s_waitcnt lgkmcnt(0)
	s_barrier
	buffer_gl0_inv
	s_cbranch_scc1 .LBB19_37
; %bb.36:
	s_load_dword s2, s[6:7], 0xd4
	s_cbranch_execz .LBB19_38
	s_branch .LBB19_45
.LBB19_37:
                                        ; implicit-def: $sgpr2
.LBB19_38:
	ds_read_b32 v2, v10
	v_xor_b32_e32 v3, 16, v78
	v_xor_b32_e32 v6, 8, v78
	;; [unrolled: 1-line block ×5, first 2 shown]
	v_cmp_gt_i32_e32 vcc_lo, 32, v3
	s_waitcnt lgkmcnt(0)
	s_load_dword s2, s[6:7], 0xd4
	v_mov_b32_e32 v15, 0x10001
	v_lshl_add_u32 v1, v1, 2, 0x500
	v_cndmask_b32_e32 v3, v78, v3, vcc_lo
	v_cmp_gt_i32_e32 vcc_lo, 32, v6
	v_lshlrev_b32_e32 v5, 2, v3
	v_cndmask_b32_e32 v6, v78, v6, vcc_lo
	v_cmp_gt_i32_e32 vcc_lo, 32, v7
	ds_bpermute_b32 v3, v5, v2
	v_max_f32_e32 v2, v2, v2
	v_lshlrev_b32_e32 v6, 2, v6
	v_cndmask_b32_e32 v7, v78, v7, vcc_lo
	v_cmp_gt_i32_e32 vcc_lo, 32, v8
	v_lshlrev_b32_e32 v7, 2, v7
	v_cndmask_b32_e32 v8, v78, v8, vcc_lo
	v_cmp_gt_i32_e32 vcc_lo, 32, v9
	v_lshlrev_b32_e32 v8, 2, v8
	v_cndmask_b32_e32 v9, v78, v9, vcc_lo
	v_lshlrev_b32_e32 v9, 2, v9
	s_waitcnt lgkmcnt(0)
	v_max_f32_e32 v3, v3, v3
	v_max_f32_e32 v2, v2, v3
	ds_bpermute_b32 v3, v6, v2
	s_waitcnt lgkmcnt(0)
	v_max_f32_e32 v3, v3, v3
	v_max_f32_e32 v2, v2, v3
	ds_bpermute_b32 v3, v7, v2
	;; [unrolled: 4-line block ×4, first 2 shown]
	s_waitcnt lgkmcnt(0)
	v_max_f32_e32 v3, v3, v3
	v_max_f32_e32 v2, v2, v3
	v_sub_f32_e32 v3, v70, v2
	v_mul_f32_e32 v11, 0x3fb8aa3b, v3
	v_cmp_ngt_f32_e32 vcc_lo, 0xc2ce8ed0, v3
	v_fma_f32 v12, 0x3fb8aa3b, v3, -v11
	v_rndne_f32_e32 v13, v11
	v_fmamk_f32 v12, v3, 0x32a5705f, v12
	v_sub_f32_e32 v11, v11, v13
	v_add_f32_e32 v11, v11, v12
	v_cvt_i32_f32_e32 v12, v13
	ds_read_b64 v[13:14], v76
	v_exp_f32_e32 v11, v11
	v_ldexp_f32 v11, v11, v12
	v_cndmask_b32_e32 v11, 0, v11, vcc_lo
	v_cmp_nlt_f32_e32 vcc_lo, 0x42b17218, v3
	v_cndmask_b32_e32 v11, 0x7f800000, v11, vcc_lo
	v_mul_f32_e32 v3, v82, v11
	ds_bpermute_b32 v3, v5, v3
	s_waitcnt lgkmcnt(0)
	v_fmac_f32_e32 v3, v82, v11
	v_cvt_f16_f32_e32 v11, v11
	ds_bpermute_b32 v12, v6, v3
	v_mul_u32_u24_sdwa v11, v11, v15 dst_sel:DWORD dst_unused:UNUSED_PAD src0_sel:WORD_0 src1_sel:DWORD
	v_lshlrev_b32_e32 v15, 3, v0
	v_pk_mul_f16 v13, v13, v11
	v_pk_mul_f16 v14, v14, v11
	v_add_nc_u32_e32 v11, v72, v15
	ds_write_b64 v76, v[13:14]
	ds_write_b64 v11, v[13:14]
	s_waitcnt lgkmcnt(2)
	v_add_f32_e32 v3, v3, v12
	ds_bpermute_b32 v12, v7, v3
	s_waitcnt lgkmcnt(0)
	v_add_f32_e32 v3, v3, v12
	ds_bpermute_b32 v12, v8, v3
	;; [unrolled: 3-line block ×3, first 2 shown]
	s_and_saveexec_b32 s1, s0
	s_cbranch_execz .LBB19_40
; %bb.39:
	s_waitcnt lgkmcnt(0)
	v_add_f32_e32 v3, v3, v12
	ds_write_b32 v1, v3
.LBB19_40:
	s_or_b32 exec_lo, exec_lo, s1
	s_waitcnt lgkmcnt(0)
	s_barrier
	buffer_gl0_inv
	ds_read_b32 v3, v4
	ds_read_u16 v12, v75
	ds_read_u16 v13, v75 offset:256
	ds_read_u16 v14, v75 offset:512
	;; [unrolled: 1-line block ×3, first 2 shown]
	s_cmp_eq_u32 s2, 1
	s_mul_i32 s3, s33, s36
	s_cselect_b32 s1, -1, 0
	s_add_i32 s3, s30, s3
	s_mul_i32 s3, s3, s37
	s_add_i32 s3, s3, s38
	s_mul_i32 s4, s2, s3
	s_add_i32 s4, s4, s34
	s_waitcnt lgkmcnt(4)
	ds_bpermute_b32 v16, v5, v3
	s_waitcnt lgkmcnt(4)
	v_cvt_f32_f16_e32 v12, v12
	s_waitcnt lgkmcnt(3)
	v_cvt_f32_f16_e32 v13, v13
	s_waitcnt lgkmcnt(2)
	v_cvt_f32_f16_e32 v14, v14
	v_add_f32_e32 v12, 0, v12
	v_add_f32_e32 v12, v12, v13
	s_waitcnt lgkmcnt(1)
	v_cvt_f32_f16_e32 v13, v15
	v_add_f32_e32 v12, v12, v14
	s_waitcnt lgkmcnt(0)
	v_add_f32_e32 v3, v3, v16
	v_add_f32_e32 v14, v12, v13
	ds_bpermute_b32 v16, v6, v3
	s_waitcnt lgkmcnt(0)
	v_add_f32_e32 v3, v3, v16
	ds_bpermute_b32 v16, v7, v3
	s_waitcnt lgkmcnt(0)
	;; [unrolled: 3-line block ×4, first 2 shown]
	v_add_f32_e32 v82, v3, v16
	v_div_scale_f32 v3, null, v82, v82, v14
	v_div_scale_f32 v15, vcc_lo, v14, v82, v14
	v_rcp_f32_e32 v12, v3
	v_fma_f32 v13, -v3, v12, 1.0
	v_fmac_f32_e32 v12, v13, v12
	v_mul_f32_e32 v13, v15, v12
	v_fma_f32 v16, -v3, v13, v15
	v_fmac_f32_e32 v13, v16, v12
	v_fma_f32 v3, -v3, v13, v15
	v_div_fmas_f32 v3, v3, v12, v13
	v_mov_b32_e32 v13, 0
	v_lshl_or_b32 v12, s4, 7, v73
	s_or_b32 s4, s30, 1
	v_div_fixup_f32 v3, v3, v82, v14
	s_cmp_ge_i32 s4, s36
	v_lshlrev_b64 v[12:13], 2, v[12:13]
	v_cndmask_b32_e64 v14, v14, v3, s1
	v_mov_b32_e32 v3, v71
	v_add_co_u32 v12, vcc_lo, s24, v12
	v_add_co_ci_u32_e64 v13, null, s25, v13, vcc_lo
	global_store_dword v[12:13], v14, off
	s_waitcnt_vscnt null, 0x0
	s_barrier
	buffer_gl0_inv
	s_cbranch_scc1 .LBB19_44
; %bb.41:
	ds_read_b32 v3, v10 offset:128
	v_mov_b32_e32 v16, 0x10001
	s_waitcnt lgkmcnt(0)
	ds_bpermute_b32 v10, v5, v3
	v_max_f32_e32 v3, v3, v3
	s_waitcnt lgkmcnt(0)
	v_max_f32_e32 v10, v10, v10
	v_max_f32_e32 v3, v3, v10
	ds_bpermute_b32 v10, v6, v3
	s_waitcnt lgkmcnt(0)
	v_max_f32_e32 v10, v10, v10
	v_max_f32_e32 v3, v3, v10
	ds_bpermute_b32 v10, v7, v3
	;; [unrolled: 4-line block ×4, first 2 shown]
	s_waitcnt lgkmcnt(0)
	v_max_f32_e32 v10, v10, v10
	v_max_f32_e32 v3, v3, v10
	v_sub_f32_e32 v10, v71, v3
	v_mul_f32_e32 v12, 0x3fb8aa3b, v10
	v_cmp_ngt_f32_e32 vcc_lo, 0xc2ce8ed0, v10
	v_fma_f32 v13, 0x3fb8aa3b, v10, -v12
	v_rndne_f32_e32 v14, v12
	v_fmamk_f32 v13, v10, 0x32a5705f, v13
	v_sub_f32_e32 v12, v12, v14
	v_add_f32_e32 v12, v12, v13
	v_cvt_i32_f32_e32 v13, v14
	v_exp_f32_e32 v12, v12
	v_ldexp_f32 v12, v12, v13
	ds_read_b64 v[13:14], v76 offset:8
	v_cndmask_b32_e32 v12, 0, v12, vcc_lo
	v_cmp_nlt_f32_e32 vcc_lo, 0x42b17218, v10
	v_cndmask_b32_e32 v15, 0x7f800000, v12, vcc_lo
	v_mul_f32_e32 v10, v81, v15
	ds_bpermute_b32 v10, v5, v10
	s_waitcnt lgkmcnt(0)
	v_fmac_f32_e32 v10, v81, v15
	v_cvt_f16_f32_e32 v15, v15
	ds_bpermute_b32 v12, v6, v10
	v_mul_u32_u24_sdwa v15, v15, v16 dst_sel:DWORD dst_unused:UNUSED_PAD src0_sel:WORD_0 src1_sel:DWORD
	v_pk_mul_f16 v13, v13, v15
	v_pk_mul_f16 v14, v14, v15
	ds_write_b64 v76, v[13:14] offset:8
	ds_write_b64 v11, v[13:14]
	s_waitcnt lgkmcnt(2)
	v_add_f32_e32 v10, v10, v12
	ds_bpermute_b32 v12, v7, v10
	s_waitcnt lgkmcnt(0)
	v_add_f32_e32 v10, v10, v12
	ds_bpermute_b32 v12, v8, v10
	;; [unrolled: 3-line block ×3, first 2 shown]
	s_and_saveexec_b32 s4, s0
	s_cbranch_execz .LBB19_43
; %bb.42:
	s_waitcnt lgkmcnt(0)
	v_add_f32_e32 v10, v10, v12
	ds_write_b32 v1, v10 offset:128
.LBB19_43:
	s_or_b32 exec_lo, exec_lo, s4
	s_waitcnt lgkmcnt(0)
	s_barrier
	buffer_gl0_inv
	ds_read_b32 v1, v4 offset:128
	ds_read_u16 v4, v75
	ds_read_u16 v10, v75 offset:256
	ds_read_u16 v11, v75 offset:512
	;; [unrolled: 1-line block ×3, first 2 shown]
	s_add_i32 s3, s3, s37
	s_mul_i32 s0, s2, s3
	s_add_i32 s0, s0, s34
	s_waitcnt lgkmcnt(4)
	ds_bpermute_b32 v5, v5, v1
	s_waitcnt lgkmcnt(4)
	v_cvt_f32_f16_e32 v4, v4
	v_add_f32_e32 v4, 0, v4
	s_waitcnt lgkmcnt(0)
	v_add_f32_e32 v1, v1, v5
	ds_bpermute_b32 v5, v6, v1
	v_cvt_f32_f16_e32 v6, v10
	v_add_f32_e32 v4, v4, v6
	v_cvt_f32_f16_e32 v6, v12
	s_waitcnt lgkmcnt(0)
	v_add_f32_e32 v1, v1, v5
	ds_bpermute_b32 v5, v7, v1
	v_cvt_f32_f16_e32 v7, v11
	v_add_f32_e32 v4, v4, v7
	v_add_f32_e32 v6, v4, v6
	s_waitcnt lgkmcnt(0)
	v_add_f32_e32 v1, v1, v5
	ds_bpermute_b32 v5, v8, v1
	s_waitcnt lgkmcnt(0)
	v_add_f32_e32 v1, v1, v5
	ds_bpermute_b32 v5, v9, v1
	s_waitcnt lgkmcnt(0)
	v_add_f32_e32 v81, v1, v5
	v_div_scale_f32 v1, null, v81, v81, v6
	v_div_scale_f32 v5, vcc_lo, v6, v81, v6
	v_rcp_f32_e32 v7, v1
	v_fma_f32 v4, -v1, v7, 1.0
	v_fmac_f32_e32 v7, v4, v7
	v_mul_f32_e32 v8, v5, v7
	v_fma_f32 v4, -v1, v8, v5
	v_fmac_f32_e32 v8, v4, v7
	v_lshl_or_b32 v4, s0, 7, v73
	v_fma_f32 v1, -v1, v8, v5
	v_mov_b32_e32 v5, 0
	v_div_fmas_f32 v1, v1, v7, v8
	v_lshlrev_b64 v[4:5], 2, v[4:5]
	v_div_fixup_f32 v1, v1, v81, v6
	v_add_co_u32 v4, vcc_lo, s24, v4
	v_add_co_ci_u32_e64 v5, null, s25, v5, vcc_lo
	v_cndmask_b32_e64 v1, v6, v1, s1
	global_store_dword v[4:5], v1, off
.LBB19_44:
	v_mov_b32_e32 v71, v3
	v_mov_b32_e32 v70, v2
.LBB19_45:
	v_or_b32_e32 v0, s30, v0
	v_cmp_gt_u32_e32 vcc_lo, 2, v73
	s_waitcnt lgkmcnt(0)
	s_cmp_lg_u32 s2, 1
	s_cselect_b32 s1, -1, 0
	v_cmp_gt_i32_e64 s0, s36, v0
	s_and_b32 s1, s1, vcc_lo
	s_and_b32 s0, s1, s0
	s_and_saveexec_b32 s1, s0
	s_cbranch_execz .LBB19_47
; %bb.46:
	v_mad_u64_u32 v[0:1], null, s33, s36, v[0:1]
	v_cmp_eq_u32_e32 vcc_lo, 1, v73
	v_cndmask_b32_e32 v2, v70, v71, vcc_lo
	v_mad_u64_u32 v[0:1], null, v0, s37, s[38:39]
	v_cndmask_b32_e32 v3, v82, v81, vcc_lo
	v_mad_u64_u32 v[0:1], null, s2, v0, s[34:35]
	v_mov_b32_e32 v1, 0
	v_lshlrev_b64 v[0:1], 3, v[0:1]
	v_add_co_u32 v0, vcc_lo, s26, v0
	v_add_co_ci_u32_e64 v1, null, s27, v1, vcc_lo
	global_store_dwordx2 v[0:1], v[2:3], off
.LBB19_47:
	s_endpgm
	.section	.rodata,"a",@progbits
	.p2align	6, 0x0
	.amdhsa_kernel _ZL18flash_attn_ext_vecILi128ELi2EL9ggml_type2ELS0_2ELb0EEvPKcS2_S2_S2_S2_PKiPfP15HIP_vector_typeIfLj2EEffffjfiS6_IjLj3EEiiiiiiiiiiiliiliiiiil
		.amdhsa_group_segment_fixed_size 3584
		.amdhsa_private_segment_fixed_size 0
		.amdhsa_kernarg_size 464
		.amdhsa_user_sgpr_count 8
		.amdhsa_user_sgpr_private_segment_buffer 1
		.amdhsa_user_sgpr_dispatch_ptr 1
		.amdhsa_user_sgpr_queue_ptr 0
		.amdhsa_user_sgpr_kernarg_segment_ptr 1
		.amdhsa_user_sgpr_dispatch_id 0
		.amdhsa_user_sgpr_flat_scratch_init 0
		.amdhsa_user_sgpr_private_segment_size 0
		.amdhsa_wavefront_size32 1
		.amdhsa_uses_dynamic_stack 0
		.amdhsa_system_sgpr_private_segment_wavefront_offset 0
		.amdhsa_system_sgpr_workgroup_id_x 1
		.amdhsa_system_sgpr_workgroup_id_y 1
		.amdhsa_system_sgpr_workgroup_id_z 1
		.amdhsa_system_sgpr_workgroup_info 0
		.amdhsa_system_vgpr_workitem_id 2
		.amdhsa_next_free_vgpr 253
		.amdhsa_next_free_sgpr 50
		.amdhsa_reserve_vcc 1
		.amdhsa_reserve_flat_scratch 0
		.amdhsa_float_round_mode_32 0
		.amdhsa_float_round_mode_16_64 0
		.amdhsa_float_denorm_mode_32 3
		.amdhsa_float_denorm_mode_16_64 3
		.amdhsa_dx10_clamp 1
		.amdhsa_ieee_mode 1
		.amdhsa_fp16_overflow 0
		.amdhsa_workgroup_processor_mode 1
		.amdhsa_memory_ordered 1
		.amdhsa_forward_progress 1
		.amdhsa_shared_vgpr_count 0
		.amdhsa_exception_fp_ieee_invalid_op 0
		.amdhsa_exception_fp_denorm_src 0
		.amdhsa_exception_fp_ieee_div_zero 0
		.amdhsa_exception_fp_ieee_overflow 0
		.amdhsa_exception_fp_ieee_underflow 0
		.amdhsa_exception_fp_ieee_inexact 0
		.amdhsa_exception_int_div_zero 0
	.end_amdhsa_kernel
	.section	.text._ZL18flash_attn_ext_vecILi128ELi2EL9ggml_type2ELS0_2ELb0EEvPKcS2_S2_S2_S2_PKiPfP15HIP_vector_typeIfLj2EEffffjfiS6_IjLj3EEiiiiiiiiiiiliiliiiiil,"axG",@progbits,_ZL18flash_attn_ext_vecILi128ELi2EL9ggml_type2ELS0_2ELb0EEvPKcS2_S2_S2_S2_PKiPfP15HIP_vector_typeIfLj2EEffffjfiS6_IjLj3EEiiiiiiiiiiiliiliiiiil,comdat
.Lfunc_end19:
	.size	_ZL18flash_attn_ext_vecILi128ELi2EL9ggml_type2ELS0_2ELb0EEvPKcS2_S2_S2_S2_PKiPfP15HIP_vector_typeIfLj2EEffffjfiS6_IjLj3EEiiiiiiiiiiiliiliiiiil, .Lfunc_end19-_ZL18flash_attn_ext_vecILi128ELi2EL9ggml_type2ELS0_2ELb0EEvPKcS2_S2_S2_S2_PKiPfP15HIP_vector_typeIfLj2EEffffjfiS6_IjLj3EEiiiiiiiiiiiliiliiiiil
                                        ; -- End function
	.set _ZL18flash_attn_ext_vecILi128ELi2EL9ggml_type2ELS0_2ELb0EEvPKcS2_S2_S2_S2_PKiPfP15HIP_vector_typeIfLj2EEffffjfiS6_IjLj3EEiiiiiiiiiiiliiliiiiil.num_vgpr, 253
	.set _ZL18flash_attn_ext_vecILi128ELi2EL9ggml_type2ELS0_2ELb0EEvPKcS2_S2_S2_S2_PKiPfP15HIP_vector_typeIfLj2EEffffjfiS6_IjLj3EEiiiiiiiiiiiliiliiiiil.num_agpr, 0
	.set _ZL18flash_attn_ext_vecILi128ELi2EL9ggml_type2ELS0_2ELb0EEvPKcS2_S2_S2_S2_PKiPfP15HIP_vector_typeIfLj2EEffffjfiS6_IjLj3EEiiiiiiiiiiiliiliiiiil.numbered_sgpr, 50
	.set _ZL18flash_attn_ext_vecILi128ELi2EL9ggml_type2ELS0_2ELb0EEvPKcS2_S2_S2_S2_PKiPfP15HIP_vector_typeIfLj2EEffffjfiS6_IjLj3EEiiiiiiiiiiiliiliiiiil.num_named_barrier, 0
	.set _ZL18flash_attn_ext_vecILi128ELi2EL9ggml_type2ELS0_2ELb0EEvPKcS2_S2_S2_S2_PKiPfP15HIP_vector_typeIfLj2EEffffjfiS6_IjLj3EEiiiiiiiiiiiliiliiiiil.private_seg_size, 0
	.set _ZL18flash_attn_ext_vecILi128ELi2EL9ggml_type2ELS0_2ELb0EEvPKcS2_S2_S2_S2_PKiPfP15HIP_vector_typeIfLj2EEffffjfiS6_IjLj3EEiiiiiiiiiiiliiliiiiil.uses_vcc, 1
	.set _ZL18flash_attn_ext_vecILi128ELi2EL9ggml_type2ELS0_2ELb0EEvPKcS2_S2_S2_S2_PKiPfP15HIP_vector_typeIfLj2EEffffjfiS6_IjLj3EEiiiiiiiiiiiliiliiiiil.uses_flat_scratch, 0
	.set _ZL18flash_attn_ext_vecILi128ELi2EL9ggml_type2ELS0_2ELb0EEvPKcS2_S2_S2_S2_PKiPfP15HIP_vector_typeIfLj2EEffffjfiS6_IjLj3EEiiiiiiiiiiiliiliiiiil.has_dyn_sized_stack, 0
	.set _ZL18flash_attn_ext_vecILi128ELi2EL9ggml_type2ELS0_2ELb0EEvPKcS2_S2_S2_S2_PKiPfP15HIP_vector_typeIfLj2EEffffjfiS6_IjLj3EEiiiiiiiiiiiliiliiiiil.has_recursion, 0
	.set _ZL18flash_attn_ext_vecILi128ELi2EL9ggml_type2ELS0_2ELb0EEvPKcS2_S2_S2_S2_PKiPfP15HIP_vector_typeIfLj2EEffffjfiS6_IjLj3EEiiiiiiiiiiiliiliiiiil.has_indirect_call, 0
	.section	.AMDGPU.csdata,"",@progbits
; Kernel info:
; codeLenInByte = 22888
; TotalNumSgprs: 52
; NumVgprs: 253
; ScratchSize: 0
; MemoryBound: 0
; FloatMode: 240
; IeeeMode: 1
; LDSByteSize: 3584 bytes/workgroup (compile time only)
; SGPRBlocks: 0
; VGPRBlocks: 31
; NumSGPRsForWavesPerEU: 52
; NumVGPRsForWavesPerEU: 253
; Occupancy: 4
; WaveLimiterHint : 0
; COMPUTE_PGM_RSRC2:SCRATCH_EN: 0
; COMPUTE_PGM_RSRC2:USER_SGPR: 8
; COMPUTE_PGM_RSRC2:TRAP_HANDLER: 0
; COMPUTE_PGM_RSRC2:TGID_X_EN: 1
; COMPUTE_PGM_RSRC2:TGID_Y_EN: 1
; COMPUTE_PGM_RSRC2:TGID_Z_EN: 1
; COMPUTE_PGM_RSRC2:TIDIG_COMP_CNT: 2
	.section	.text._ZL33flash_attn_stream_k_fixup_uniformILi128ELi2ELi1EEvPfPK15HIP_vector_typeIfLj2EEiiiiiiS1_IjLj3EES5_S5_,"axG",@progbits,_ZL33flash_attn_stream_k_fixup_uniformILi128ELi2ELi1EEvPfPK15HIP_vector_typeIfLj2EEiiiiiiS1_IjLj3EES5_S5_,comdat
	.globl	_ZL33flash_attn_stream_k_fixup_uniformILi128ELi2ELi1EEvPfPK15HIP_vector_typeIfLj2EEiiiiiiS1_IjLj3EES5_S5_ ; -- Begin function _ZL33flash_attn_stream_k_fixup_uniformILi128ELi2ELi1EEvPfPK15HIP_vector_typeIfLj2EEiiiiiiS1_IjLj3EES5_S5_
	.p2align	8
	.type	_ZL33flash_attn_stream_k_fixup_uniformILi128ELi2ELi1EEvPfPK15HIP_vector_typeIfLj2EEiiiiiiS1_IjLj3EES5_S5_,@function
_ZL33flash_attn_stream_k_fixup_uniformILi128ELi2ELi1EEvPfPK15HIP_vector_typeIfLj2EEiiiiiiS1_IjLj3EES5_S5_: ; @_ZL33flash_attn_stream_k_fixup_uniformILi128ELi2ELi1EEvPfPK15HIP_vector_typeIfLj2EEiiiiiiS1_IjLj3EES5_S5_
; %bb.0:
	s_clause 0x2
	s_load_dwordx8 s[12:19], s[4:5], 0x1c
	s_load_dwordx4 s[20:23], s[4:5], 0x3c
	s_load_dwordx2 s[10:11], s[4:5], 0x10
	s_waitcnt lgkmcnt(0)
	s_mul_hi_u32 s0, s15, s6
	s_add_i32 s0, s6, s0
	s_lshr_b32 s0, s0, s16
	s_mul_i32 s1, s0, s17
	s_sub_i32 s2, s6, s1
	s_mul_hi_u32 s1, s2, s18
	s_add_i32 s1, s2, s1
	s_lshr_b32 s1, s1, s19
	s_mul_i32 s3, s1, s20
	s_sub_i32 s2, s2, s3
	;; [unrolled: 5-line block ×3, first 2 shown]
	s_lshl_b32 s2, s15, 1
	s_add_i32 s2, s2, s7
	s_cmp_lt_i32 s2, s10
	s_cselect_b32 s2, -1, 0
	s_add_i32 s3, s9, s8
	s_cmp_lt_i32 s3, s13
	s_cselect_b32 s3, -1, 0
	s_and_b32 s2, s2, s3
	s_andn2_b32 vcc_lo, exec_lo, s2
	s_cbranch_vccnz .LBB20_6
; %bb.1:
	s_mul_i32 s0, s0, s10
	s_mul_i32 s10, s1, s13
	s_add_i32 s0, s0, s7
	s_mul_i32 s0, s0, s11
	s_add_i32 s13, s0, s8
	s_load_dwordx4 s[0:3], s[4:5], 0x0
	s_add_i32 s4, s13, s10
	s_mul_i32 s5, s11, s15
	s_add_i32 s4, s4, s9
	s_lshl_b32 s5, s5, 8
	s_lshl_b32 s4, s4, 7
	s_add_i32 s8, s7, s8
	s_add_i32 s5, s5, s4
	s_mul_i32 s4, s14, s6
	v_or_b32_e32 v1, s5, v0
	s_add_i32 s9, s4, s14
	v_ashrrev_i32_e32 v2, 31, v1
	v_lshlrev_b64 v[1:2], 2, v[1:2]
	s_waitcnt lgkmcnt(0)
	v_add_co_u32 v1, vcc_lo, s0, v1
	v_add_co_ci_u32_e64 v2, null, s1, v2, vcc_lo
	s_lshl_b32 s0, s9, 1
	s_add_i32 s0, s8, s0
	global_load_dword v5, v[1:2], off
	s_add_i32 s0, s0, -2
	s_ashr_i32 s1, s0, 31
	s_lshl_b64 s[0:1], s[0:1], 3
	s_add_u32 s0, s2, s0
	s_addc_u32 s1, s3, s1
	s_add_i32 s5, s9, -2
	s_load_dword s10, s[0:1], 0x4
	s_cmp_lt_i32 s5, s4
	s_cbranch_scc1 .LBB20_4
; %bb.2:
	s_lshl_b32 s16, s12, 3
	s_load_dword s11, s[0:1], 0x0
	s_ashr_i32 s17, s16, 31
	s_waitcnt lgkmcnt(0)
	v_mov_b32_e32 v6, s10
	s_lshl_b64 s[0:1], s[16:17], 2
	s_add_u32 s5, s2, s0
	s_addc_u32 s7, s3, s1
	s_add_i32 s6, s6, 1
	s_lshl_b32 s1, s8, 7
	s_mul_i32 s0, s14, s6
	s_lshl_b32 s6, s0, 8
	s_lshl_b32 s0, s0, 1
	s_add_i32 s1, s1, s6
	s_add_i32 s0, s8, s0
	v_or_b32_e32 v0, s1, v0
	s_lshl_b32 s1, s12, 1
	s_add_i32 s6, s9, -1
	s_add_i32 s0, s0, s1
	v_add_nc_u32_e32 v3, 0xfffffe00, v0
	v_mov_b32_e32 v0, s11
	s_add_i32 s0, s0, -4
.LBB20_3:                               ; =>This Inner Loop Header: Depth=1
	v_ashrrev_i32_e32 v4, 31, v3
	s_ashr_i32 s1, s0, 31
	s_lshl_b64 s[8:9], s[0:1], 3
	s_add_u32 s8, s2, s8
	v_lshlrev_b64 v[7:8], 2, v[3:4]
	s_addc_u32 s9, s3, s9
	v_add_nc_u32_e32 v3, 0xffffff00, v3
	s_add_i32 s6, s6, -1
	s_add_i32 s0, s0, -2
	s_cmp_le_i32 s6, s4
	v_add_co_u32 v7, vcc_lo, s5, v7
	v_add_co_ci_u32_e64 v8, null, s7, v8, vcc_lo
	s_load_dwordx2 s[8:9], s[8:9], 0x0
	global_load_dword v4, v[7:8], off
	v_max_f32_e32 v7, v0, v0
	s_waitcnt lgkmcnt(0)
	v_max_f32_e64 v8, s8, s8
	v_max_f32_e32 v7, v7, v8
	v_sub_f32_e32 v8, s8, v7
	v_sub_f32_e32 v0, v0, v7
	v_mul_f32_e32 v9, 0x3fb8aa3b, v8
	v_mul_f32_e32 v12, 0x3fb8aa3b, v0
	v_cmp_ngt_f32_e32 vcc_lo, 0xc2ce8ed0, v8
	v_fma_f32 v10, 0x3fb8aa3b, v8, -v9
	v_rndne_f32_e32 v11, v9
	v_fma_f32 v13, 0x3fb8aa3b, v0, -v12
	v_rndne_f32_e32 v14, v12
	v_fmac_f32_e32 v10, 0x32a5705f, v8
	v_sub_f32_e32 v9, v9, v11
	v_fmac_f32_e32 v13, 0x32a5705f, v0
	v_cvt_i32_f32_e32 v11, v11
	v_add_f32_e32 v9, v9, v10
	v_sub_f32_e32 v10, v12, v14
	v_exp_f32_e32 v9, v9
	v_add_f32_e32 v10, v10, v13
	v_exp_f32_e32 v10, v10
	v_ldexp_f32 v9, v9, v11
	v_cvt_i32_f32_e32 v11, v14
	v_cndmask_b32_e32 v9, 0, v9, vcc_lo
	v_cmp_nlt_f32_e32 vcc_lo, 0x42b17218, v8
	v_ldexp_f32 v10, v10, v11
	v_mov_b32_e32 v11, v6
	v_cndmask_b32_e32 v9, 0x7f800000, v9, vcc_lo
	v_cmp_ngt_f32_e32 vcc_lo, 0xc2ce8ed0, v0
	v_cndmask_b32_e32 v10, 0, v10, vcc_lo
	v_cmp_le_f32_e32 vcc_lo, 0xc1a00000, v8
	v_cndmask_b32_e32 v8, 0, v9, vcc_lo
	v_cmp_nlt_f32_e32 vcc_lo, 0x42b17218, v0
	s_waitcnt vmcnt(1)
	v_mov_b32_e32 v9, v5
	v_cndmask_b32_e32 v5, 0x7f800000, v10, vcc_lo
	v_mul_f32_e32 v10, s9, v8
	v_cmp_le_f32_e32 vcc_lo, 0xc1a00000, v0
	v_mov_b32_e32 v0, v7
	v_mov_b32_e32 v6, v10
	v_cndmask_b32_e32 v12, 0, v5, vcc_lo
	v_fmac_f32_e32 v6, v11, v12
	s_waitcnt vmcnt(0)
	v_mul_f32_e32 v5, v4, v8
	v_fmac_f32_e32 v5, v9, v12
	s_cbranch_scc0 .LBB20_3
	s_branch .LBB20_5
.LBB20_4:
	s_waitcnt lgkmcnt(0)
	v_mov_b32_e32 v6, s10
.LBB20_5:
	s_waitcnt vmcnt(0)
	v_div_scale_f32 v0, null, v6, v6, v5
	v_rcp_f32_e32 v3, v0
	v_fma_f32 v4, -v0, v3, 1.0
	v_fmac_f32_e32 v3, v4, v3
	v_div_scale_f32 v4, vcc_lo, v5, v6, v5
	v_mul_f32_e32 v7, v4, v3
	v_fma_f32 v8, -v0, v7, v4
	v_fmac_f32_e32 v7, v8, v3
	v_fma_f32 v0, -v0, v7, v4
	v_div_fmas_f32 v0, v0, v3, v7
	v_div_fixup_f32 v0, v0, v6, v5
	global_store_dword v[1:2], v0, off
.LBB20_6:
	s_endpgm
	.section	.rodata,"a",@progbits
	.p2align	6, 0x0
	.amdhsa_kernel _ZL33flash_attn_stream_k_fixup_uniformILi128ELi2ELi1EEvPfPK15HIP_vector_typeIfLj2EEiiiiiiS1_IjLj3EES5_S5_
		.amdhsa_group_segment_fixed_size 0
		.amdhsa_private_segment_fixed_size 0
		.amdhsa_kernarg_size 76
		.amdhsa_user_sgpr_count 6
		.amdhsa_user_sgpr_private_segment_buffer 1
		.amdhsa_user_sgpr_dispatch_ptr 0
		.amdhsa_user_sgpr_queue_ptr 0
		.amdhsa_user_sgpr_kernarg_segment_ptr 1
		.amdhsa_user_sgpr_dispatch_id 0
		.amdhsa_user_sgpr_flat_scratch_init 0
		.amdhsa_user_sgpr_private_segment_size 0
		.amdhsa_wavefront_size32 1
		.amdhsa_uses_dynamic_stack 0
		.amdhsa_system_sgpr_private_segment_wavefront_offset 0
		.amdhsa_system_sgpr_workgroup_id_x 1
		.amdhsa_system_sgpr_workgroup_id_y 1
		.amdhsa_system_sgpr_workgroup_id_z 1
		.amdhsa_system_sgpr_workgroup_info 0
		.amdhsa_system_vgpr_workitem_id 0
		.amdhsa_next_free_vgpr 15
		.amdhsa_next_free_sgpr 24
		.amdhsa_reserve_vcc 1
		.amdhsa_reserve_flat_scratch 0
		.amdhsa_float_round_mode_32 0
		.amdhsa_float_round_mode_16_64 0
		.amdhsa_float_denorm_mode_32 3
		.amdhsa_float_denorm_mode_16_64 3
		.amdhsa_dx10_clamp 1
		.amdhsa_ieee_mode 1
		.amdhsa_fp16_overflow 0
		.amdhsa_workgroup_processor_mode 1
		.amdhsa_memory_ordered 1
		.amdhsa_forward_progress 1
		.amdhsa_shared_vgpr_count 0
		.amdhsa_exception_fp_ieee_invalid_op 0
		.amdhsa_exception_fp_denorm_src 0
		.amdhsa_exception_fp_ieee_div_zero 0
		.amdhsa_exception_fp_ieee_overflow 0
		.amdhsa_exception_fp_ieee_underflow 0
		.amdhsa_exception_fp_ieee_inexact 0
		.amdhsa_exception_int_div_zero 0
	.end_amdhsa_kernel
	.section	.text._ZL33flash_attn_stream_k_fixup_uniformILi128ELi2ELi1EEvPfPK15HIP_vector_typeIfLj2EEiiiiiiS1_IjLj3EES5_S5_,"axG",@progbits,_ZL33flash_attn_stream_k_fixup_uniformILi128ELi2ELi1EEvPfPK15HIP_vector_typeIfLj2EEiiiiiiS1_IjLj3EES5_S5_,comdat
.Lfunc_end20:
	.size	_ZL33flash_attn_stream_k_fixup_uniformILi128ELi2ELi1EEvPfPK15HIP_vector_typeIfLj2EEiiiiiiS1_IjLj3EES5_S5_, .Lfunc_end20-_ZL33flash_attn_stream_k_fixup_uniformILi128ELi2ELi1EEvPfPK15HIP_vector_typeIfLj2EEiiiiiiS1_IjLj3EES5_S5_
                                        ; -- End function
	.set _ZL33flash_attn_stream_k_fixup_uniformILi128ELi2ELi1EEvPfPK15HIP_vector_typeIfLj2EEiiiiiiS1_IjLj3EES5_S5_.num_vgpr, 15
	.set _ZL33flash_attn_stream_k_fixup_uniformILi128ELi2ELi1EEvPfPK15HIP_vector_typeIfLj2EEiiiiiiS1_IjLj3EES5_S5_.num_agpr, 0
	.set _ZL33flash_attn_stream_k_fixup_uniformILi128ELi2ELi1EEvPfPK15HIP_vector_typeIfLj2EEiiiiiiS1_IjLj3EES5_S5_.numbered_sgpr, 24
	.set _ZL33flash_attn_stream_k_fixup_uniformILi128ELi2ELi1EEvPfPK15HIP_vector_typeIfLj2EEiiiiiiS1_IjLj3EES5_S5_.num_named_barrier, 0
	.set _ZL33flash_attn_stream_k_fixup_uniformILi128ELi2ELi1EEvPfPK15HIP_vector_typeIfLj2EEiiiiiiS1_IjLj3EES5_S5_.private_seg_size, 0
	.set _ZL33flash_attn_stream_k_fixup_uniformILi128ELi2ELi1EEvPfPK15HIP_vector_typeIfLj2EEiiiiiiS1_IjLj3EES5_S5_.uses_vcc, 1
	.set _ZL33flash_attn_stream_k_fixup_uniformILi128ELi2ELi1EEvPfPK15HIP_vector_typeIfLj2EEiiiiiiS1_IjLj3EES5_S5_.uses_flat_scratch, 0
	.set _ZL33flash_attn_stream_k_fixup_uniformILi128ELi2ELi1EEvPfPK15HIP_vector_typeIfLj2EEiiiiiiS1_IjLj3EES5_S5_.has_dyn_sized_stack, 0
	.set _ZL33flash_attn_stream_k_fixup_uniformILi128ELi2ELi1EEvPfPK15HIP_vector_typeIfLj2EEiiiiiiS1_IjLj3EES5_S5_.has_recursion, 0
	.set _ZL33flash_attn_stream_k_fixup_uniformILi128ELi2ELi1EEvPfPK15HIP_vector_typeIfLj2EEiiiiiiS1_IjLj3EES5_S5_.has_indirect_call, 0
	.section	.AMDGPU.csdata,"",@progbits
; Kernel info:
; codeLenInByte = 828
; TotalNumSgprs: 26
; NumVgprs: 15
; ScratchSize: 0
; MemoryBound: 0
; FloatMode: 240
; IeeeMode: 1
; LDSByteSize: 0 bytes/workgroup (compile time only)
; SGPRBlocks: 0
; VGPRBlocks: 1
; NumSGPRsForWavesPerEU: 26
; NumVGPRsForWavesPerEU: 15
; Occupancy: 16
; WaveLimiterHint : 0
; COMPUTE_PGM_RSRC2:SCRATCH_EN: 0
; COMPUTE_PGM_RSRC2:USER_SGPR: 6
; COMPUTE_PGM_RSRC2:TRAP_HANDLER: 0
; COMPUTE_PGM_RSRC2:TGID_X_EN: 1
; COMPUTE_PGM_RSRC2:TGID_Y_EN: 1
; COMPUTE_PGM_RSRC2:TGID_Z_EN: 1
; COMPUTE_PGM_RSRC2:TIDIG_COMP_CNT: 0
	.section	.text._ZL33flash_attn_stream_k_fixup_generalILi128ELi2ELi1EEvPfPK15HIP_vector_typeIfLj2EEiiiiS1_IjLj3EES5_S5_S5_,"axG",@progbits,_ZL33flash_attn_stream_k_fixup_generalILi128ELi2ELi1EEvPfPK15HIP_vector_typeIfLj2EEiiiiS1_IjLj3EES5_S5_S5_,comdat
	.globl	_ZL33flash_attn_stream_k_fixup_generalILi128ELi2ELi1EEvPfPK15HIP_vector_typeIfLj2EEiiiiS1_IjLj3EES5_S5_S5_ ; -- Begin function _ZL33flash_attn_stream_k_fixup_generalILi128ELi2ELi1EEvPfPK15HIP_vector_typeIfLj2EEiiiiS1_IjLj3EES5_S5_S5_
	.p2align	8
	.type	_ZL33flash_attn_stream_k_fixup_generalILi128ELi2ELi1EEvPfPK15HIP_vector_typeIfLj2EEiiiiS1_IjLj3EES5_S5_S5_,@function
_ZL33flash_attn_stream_k_fixup_generalILi128ELi2ELi1EEvPfPK15HIP_vector_typeIfLj2EEiiiiS1_IjLj3EES5_S5_S5_: ; @_ZL33flash_attn_stream_k_fixup_generalILi128ELi2ELi1EEvPfPK15HIP_vector_typeIfLj2EEiiiiS1_IjLj3EES5_S5_S5_
; %bb.0:
	s_clause 0x1
	s_load_dwordx4 s[0:3], s[4:5], 0x10
	s_load_dword s9, s[4:5], 0x50
	s_mov_b32 s16, 0
	s_waitcnt lgkmcnt(0)
	s_mul_hi_i32 s17, s3, s6
	s_mul_i32 s18, s3, s6
	s_cmp_lg_u64 s[16:17], 0
	s_cbranch_scc0 .LBB21_21
; %bb.1:
	s_add_u32 s10, s9, 0
	s_addc_u32 s11, 0, 0
	s_xor_b64 s[10:11], s[10:11], 0
	v_cvt_f32_u32_e32 v1, s10
	v_cvt_f32_u32_e32 v2, s11
	s_sub_u32 s14, 0, s10
	s_subb_u32 s15, 0, s11
	v_fmamk_f32 v1, v2, 0x4f800000, v1
	v_rcp_f32_e32 v1, v1
	v_mul_f32_e32 v1, 0x5f7ffffc, v1
	v_mul_f32_e32 v2, 0x2f800000, v1
	v_trunc_f32_e32 v2, v2
	v_fmamk_f32 v1, v2, 0xcf800000, v1
	v_cvt_u32_f32_e32 v2, v2
	v_cvt_u32_f32_e32 v1, v1
	v_readfirstlane_b32 s12, v2
	v_readfirstlane_b32 s13, v1
	s_mul_i32 s19, s14, s12
	s_mul_hi_u32 s21, s14, s13
	s_mul_i32 s20, s15, s13
	s_add_i32 s19, s21, s19
	s_mul_i32 s22, s14, s13
	s_add_i32 s19, s19, s20
	s_mul_hi_u32 s21, s13, s22
	s_mul_i32 s24, s13, s19
	s_mul_hi_u32 s23, s12, s22
	s_mul_i32 s20, s12, s22
	s_mul_hi_u32 s22, s13, s19
	s_add_u32 s21, s21, s24
	s_addc_u32 s22, 0, s22
	s_mul_hi_u32 s25, s12, s19
	s_add_u32 s20, s21, s20
	s_mul_i32 s19, s12, s19
	s_addc_u32 s20, s22, s23
	s_addc_u32 s21, s25, 0
	s_add_u32 s19, s20, s19
	s_addc_u32 s20, 0, s21
	s_add_u32 s13, s13, s19
	s_cselect_b32 s19, -1, 0
	s_mul_hi_u32 s21, s14, s13
	s_cmp_lg_u32 s19, 0
	s_mul_i32 s19, s14, s13
	s_addc_u32 s12, s12, s20
	s_mul_i32 s15, s15, s13
	s_mul_i32 s14, s14, s12
	s_mul_hi_u32 s20, s13, s19
	s_add_i32 s14, s21, s14
	s_mul_hi_u32 s21, s12, s19
	s_add_i32 s14, s14, s15
	s_mul_i32 s15, s12, s19
	s_mul_i32 s23, s13, s14
	s_mul_hi_u32 s22, s13, s14
	s_add_u32 s20, s20, s23
	s_addc_u32 s22, 0, s22
	s_mul_hi_u32 s19, s12, s14
	s_add_u32 s15, s20, s15
	s_mul_i32 s14, s12, s14
	s_addc_u32 s15, s22, s21
	s_addc_u32 s19, s19, 0
	s_add_u32 s14, s15, s14
	s_addc_u32 s15, 0, s19
	s_add_u32 s19, s13, s14
	s_cselect_b32 s13, -1, 0
	s_cmp_lg_u32 s13, 0
	s_addc_u32 s20, s12, s15
	s_ashr_i32 s12, s17, 31
	s_add_u32 s14, s18, s12
	s_mov_b32 s13, s12
	s_addc_u32 s15, s17, s12
	s_xor_b64 s[14:15], s[14:15], s[12:13]
	s_mul_i32 s21, s14, s20
	s_mul_hi_u32 s22, s14, s19
	s_mul_hi_u32 s17, s14, s20
	;; [unrolled: 1-line block ×3, first 2 shown]
	s_mul_i32 s19, s15, s19
	s_add_u32 s21, s22, s21
	s_addc_u32 s17, 0, s17
	s_mul_hi_u32 s23, s15, s20
	s_add_u32 s19, s21, s19
	s_mul_i32 s20, s15, s20
	s_addc_u32 s17, s17, s24
	s_addc_u32 s19, s23, 0
	s_add_u32 s17, s17, s20
	s_addc_u32 s19, 0, s19
	s_mul_hi_u32 s20, s10, s17
	s_mul_i32 s21, s10, s19
	s_mul_i32 s22, s11, s17
	s_add_i32 s20, s20, s21
	s_mul_i32 s21, s10, s17
	s_add_i32 s20, s20, s22
	s_sub_i32 s22, s15, s20
	s_sub_u32 s14, s14, s21
	s_cselect_b32 s21, -1, 0
	s_cmp_lg_u32 s21, 0
	s_subb_u32 s22, s22, s11
	s_sub_u32 s23, s14, s10
	s_cselect_b32 s24, -1, 0
	s_cmp_lg_u32 s24, 0
	s_subb_u32 s22, s22, 0
	s_cmp_ge_u32 s22, s11
	s_cselect_b32 s24, -1, 0
	s_cmp_ge_u32 s23, s10
	s_cselect_b32 s23, -1, 0
	s_cmp_eq_u32 s22, s11
	s_cselect_b32 s22, s23, s24
	s_add_u32 s23, s17, 1
	s_addc_u32 s24, s19, 0
	s_add_u32 s25, s17, 2
	s_addc_u32 s26, s19, 0
	s_cmp_lg_u32 s22, 0
	s_cselect_b32 s22, s25, s23
	s_cselect_b32 s23, s26, s24
	s_cmp_lg_u32 s21, 0
	s_subb_u32 s15, s15, s20
	s_cmp_ge_u32 s15, s11
	s_cselect_b32 s20, -1, 0
	s_cmp_ge_u32 s14, s10
	s_cselect_b32 s10, -1, 0
	s_cmp_eq_u32 s15, s11
	s_cselect_b32 s10, s10, s20
	s_cmp_lg_u32 s10, 0
	s_cselect_b32 s11, s23, s19
	s_cselect_b32 s10, s22, s17
	s_xor_b64 s[12:13], s[12:13], 0
	s_xor_b64 s[10:11], s[10:11], s[12:13]
	s_sub_u32 s10, s10, s12
	s_load_dwordx4 s[12:15], s[4:5], 0x44
	s_andn2_b32 vcc_lo, exec_lo, s16
	s_cbranch_vccnz .LBB21_3
.LBB21_2:
	v_cvt_f32_u32_e32 v1, s9
	s_sub_i32 s11, 0, s9
	v_rcp_iflag_f32_e32 v1, v1
	v_mul_f32_e32 v1, 0x4f7ffffe, v1
	v_cvt_u32_f32_e32 v1, v1
	v_readfirstlane_b32 s10, v1
	s_mul_i32 s11, s11, s10
	s_mul_hi_u32 s11, s10, s11
	s_add_i32 s10, s10, s11
	s_mul_hi_u32 s10, s18, s10
	s_mul_i32 s11, s10, s9
	s_waitcnt lgkmcnt(0)
	s_add_i32 s15, s10, 1
	s_sub_i32 s11, s18, s11
	s_sub_i32 s16, s11, s9
	s_cmp_ge_u32 s11, s9
	s_cselect_b32 s10, s15, s10
	s_cselect_b32 s11, s16, s11
	s_add_i32 s15, s10, 1
	s_cmp_ge_u32 s11, s9
	s_cselect_b32 s10, s15, s10
.LBB21_3:
	s_add_i32 s11, s6, 1
	s_mov_b32 s16, 0
	s_mul_hi_i32 s17, s3, s11
	s_mul_i32 s11, s3, s11
	s_cmp_lg_u64 s[16:17], 0
	s_cbranch_scc0 .LBB21_22
; %bb.4:
	s_add_u32 s18, s9, 0
	s_addc_u32 s19, 0, 0
	s_xor_b64 s[18:19], s[18:19], 0
	v_cvt_f32_u32_e32 v1, s18
	v_cvt_f32_u32_e32 v2, s19
	s_sub_u32 s21, 0, s18
	s_subb_u32 s22, 0, s19
	v_fmamk_f32 v1, v2, 0x4f800000, v1
	v_rcp_f32_e32 v1, v1
	v_mul_f32_e32 v1, 0x5f7ffffc, v1
	v_mul_f32_e32 v2, 0x2f800000, v1
	v_trunc_f32_e32 v2, v2
	v_fmamk_f32 v1, v2, 0xcf800000, v1
	v_cvt_u32_f32_e32 v2, v2
	v_cvt_u32_f32_e32 v1, v1
	s_waitcnt lgkmcnt(0)
	v_readfirstlane_b32 s15, v2
	v_readfirstlane_b32 s20, v1
	s_mul_i32 s23, s21, s15
	s_mul_hi_u32 s25, s21, s20
	s_mul_i32 s24, s22, s20
	s_add_i32 s23, s25, s23
	s_mul_i32 s26, s21, s20
	s_add_i32 s23, s23, s24
	s_mul_hi_u32 s25, s20, s26
	s_mul_i32 s28, s20, s23
	s_mul_hi_u32 s27, s15, s26
	s_mul_i32 s24, s15, s26
	s_mul_hi_u32 s26, s20, s23
	s_add_u32 s25, s25, s28
	s_addc_u32 s26, 0, s26
	s_mul_hi_u32 s29, s15, s23
	s_add_u32 s24, s25, s24
	s_mul_i32 s23, s15, s23
	s_addc_u32 s24, s26, s27
	s_addc_u32 s25, s29, 0
	s_add_u32 s23, s24, s23
	s_addc_u32 s24, 0, s25
	s_add_u32 s20, s20, s23
	s_cselect_b32 s23, -1, 0
	s_mul_hi_u32 s25, s21, s20
	s_cmp_lg_u32 s23, 0
	s_mul_i32 s23, s21, s20
	s_addc_u32 s15, s15, s24
	s_mul_i32 s22, s22, s20
	s_mul_i32 s21, s21, s15
	s_mul_hi_u32 s24, s20, s23
	s_add_i32 s21, s25, s21
	s_mul_hi_u32 s25, s15, s23
	s_add_i32 s21, s21, s22
	s_mul_i32 s22, s15, s23
	s_mul_i32 s27, s20, s21
	s_mul_hi_u32 s26, s20, s21
	s_add_u32 s24, s24, s27
	s_addc_u32 s26, 0, s26
	s_mul_hi_u32 s23, s15, s21
	s_add_u32 s22, s24, s22
	s_mul_i32 s21, s15, s21
	s_addc_u32 s22, s26, s25
	s_addc_u32 s23, s23, 0
	s_add_u32 s21, s22, s21
	s_addc_u32 s22, 0, s23
	s_add_u32 s24, s20, s21
	s_cselect_b32 s20, -1, 0
	s_cmp_lg_u32 s20, 0
	s_addc_u32 s15, s15, s22
	s_ashr_i32 s20, s17, 31
	s_add_u32 s22, s11, s20
	s_mov_b32 s21, s20
	s_addc_u32 s23, s17, s20
	s_xor_b64 s[22:23], s[22:23], s[20:21]
	s_mul_i32 s25, s22, s15
	s_mul_hi_u32 s26, s22, s24
	s_mul_hi_u32 s17, s22, s15
	;; [unrolled: 1-line block ×3, first 2 shown]
	s_mul_i32 s24, s23, s24
	s_add_u32 s25, s26, s25
	s_addc_u32 s17, 0, s17
	s_mul_hi_u32 s27, s23, s15
	s_add_u32 s24, s25, s24
	s_mul_i32 s15, s23, s15
	s_addc_u32 s17, s17, s28
	s_addc_u32 s24, s27, 0
	s_add_u32 s15, s17, s15
	s_addc_u32 s17, 0, s24
	s_mul_hi_u32 s24, s18, s15
	s_mul_i32 s25, s18, s17
	s_mul_i32 s26, s19, s15
	s_add_i32 s24, s24, s25
	s_mul_i32 s25, s18, s15
	s_add_i32 s24, s24, s26
	s_sub_i32 s26, s23, s24
	s_sub_u32 s22, s22, s25
	s_cselect_b32 s25, -1, 0
	s_cmp_lg_u32 s25, 0
	s_subb_u32 s26, s26, s19
	s_sub_u32 s27, s22, s18
	s_cselect_b32 s28, -1, 0
	s_cmp_lg_u32 s28, 0
	s_subb_u32 s26, s26, 0
	s_cmp_ge_u32 s26, s19
	s_cselect_b32 s28, -1, 0
	s_cmp_ge_u32 s27, s18
	s_cselect_b32 s27, -1, 0
	s_cmp_eq_u32 s26, s19
	s_cselect_b32 s26, s27, s28
	s_add_u32 s27, s15, 1
	s_addc_u32 s28, s17, 0
	s_add_u32 s29, s15, 2
	s_addc_u32 s30, s17, 0
	s_cmp_lg_u32 s26, 0
	s_cselect_b32 s26, s29, s27
	s_cselect_b32 s27, s30, s28
	s_cmp_lg_u32 s25, 0
	s_subb_u32 s23, s23, s24
	s_cmp_ge_u32 s23, s19
	s_cselect_b32 s24, -1, 0
	s_cmp_ge_u32 s22, s18
	s_cselect_b32 s18, -1, 0
	s_cmp_eq_u32 s23, s19
	s_cselect_b32 s18, s18, s24
	s_cmp_lg_u32 s18, 0
	s_cselect_b32 s19, s27, s17
	s_cselect_b32 s18, s26, s15
	s_xor_b64 s[20:21], s[20:21], 0
	s_xor_b64 s[18:19], s[18:19], s[20:21]
	s_sub_u32 s18, s18, s20
	s_andn2_b32 vcc_lo, exec_lo, s16
	s_cbranch_vccnz .LBB21_6
.LBB21_5:
	v_cvt_f32_u32_e32 v1, s9
	s_sub_i32 s16, 0, s9
	v_rcp_iflag_f32_e32 v1, v1
	v_mul_f32_e32 v1, 0x4f7ffffe, v1
	v_cvt_u32_f32_e32 v1, v1
	s_waitcnt lgkmcnt(0)
	v_readfirstlane_b32 s15, v1
	s_mul_i32 s16, s16, s15
	s_mul_hi_u32 s16, s15, s16
	s_add_i32 s15, s15, s16
	s_mul_hi_u32 s15, s11, s15
	s_mul_i32 s16, s15, s9
	s_sub_i32 s11, s11, s16
	s_add_i32 s16, s15, 1
	s_sub_i32 s17, s11, s9
	s_cmp_ge_u32 s11, s9
	s_cselect_b32 s15, s16, s15
	s_cselect_b32 s11, s17, s11
	s_add_i32 s16, s15, 1
	s_cmp_ge_u32 s11, s9
	s_cselect_b32 s18, s16, s15
.LBB21_6:
	s_cmp_eq_u32 s10, s18
	s_waitcnt lgkmcnt(0)
	s_mul_hi_u32 s11, s10, s12
	s_cselect_b32 s15, -1, 0
	s_add_i32 s11, s11, s10
	s_lshr_b32 s11, s11, s13
	s_mul_i32 s16, s11, s14
	s_cmp_eq_u32 s16, s10
	s_mul_hi_u32 s16, s18, s12
	s_cselect_b32 s17, -1, 0
	s_add_i32 s16, s16, s18
	s_lshr_b32 s16, s16, s13
	s_cmp_eq_u32 s11, s16
	s_mul_i32 s16, s16, s14
	s_cselect_b32 s19, -1, 0
	s_cmp_lg_u32 s16, s18
	s_cselect_b32 s16, -1, 0
	s_or_b32 s15, s15, s17
	s_and_b32 s16, s19, s16
	s_or_b32 s15, s15, s16
	s_and_b32 vcc_lo, exec_lo, s15
	s_cbranch_vccnz .LBB21_24
; %bb.7:
	s_load_dwordx8 s[20:27], s[4:5], 0x20
	s_waitcnt lgkmcnt(0)
	s_mul_hi_u32 s15, s10, s20
	s_add_i32 s15, s15, s10
	s_lshr_b32 s20, s15, s21
	s_load_dword s15, s[4:5], 0x40
	s_mul_i32 s16, s20, s22
	s_sub_i32 s16, s10, s16
	s_mul_hi_u32 s17, s16, s23
	s_add_i32 s17, s16, s17
	s_lshr_b32 s22, s17, s24
	s_mul_i32 s17, s22, s25
	s_sub_i32 s16, s16, s17
	s_mul_hi_u32 s17, s16, s26
	s_add_i32 s17, s16, s17
	s_lshr_b32 s23, s17, s27
	s_waitcnt lgkmcnt(0)
	s_mul_i32 s15, s23, s15
	s_sub_i32 s15, s16, s15
	s_mul_hi_u32 s16, s15, s12
	s_add_i32 s15, s15, s16
	s_lshr_b32 s24, s15, s13
	s_lshl_b32 s15, s24, 1
	s_add_i32 s15, s15, s7
	s_cmp_lt_i32 s15, s0
	s_cselect_b32 s15, -1, 0
	s_add_i32 s16, s23, s8
	s_cmp_lt_i32 s16, s2
	s_cselect_b32 s16, -1, 0
	s_and_b32 s15, s15, s16
	s_andn2_b32 vcc_lo, exec_lo, s15
	s_cbranch_vccnz .LBB21_24
; %bb.8:
	s_load_dwordx4 s[16:19], s[4:5], 0x0
	s_mov_b32 s4, 0
	s_lshl_b32 s26, s9, 3
	s_mov_b32 s27, s4
	s_add_i32 s15, s7, s8
	s_lshl_b64 s[26:27], s[26:27], 2
	s_mul_i32 s0, s20, s0
	s_mul_i32 s22, s22, s2
	v_cvt_f32_u32_e32 v4, s9
	v_rcp_iflag_f32_e32 v4, v4
	s_waitcnt lgkmcnt(0)
	s_add_u32 s20, s18, s26
	s_addc_u32 s21, s19, s27
	s_add_i32 s0, s0, s7
	v_mul_f32_e32 v4, 0x4f7ffffe, v4
	s_mul_i32 s0, s0, s1
	s_mul_i32 s1, s1, s24
	s_add_i32 s0, s0, s8
	s_lshl_b32 s1, s1, 8
	s_add_i32 s0, s0, s22
	v_cvt_u32_f32_e32 v4, v4
	s_add_i32 s0, s0, s23
	s_lshl_b32 s0, s0, 7
	s_add_i32 s1, s1, s0
	s_lshl_b32 s0, s6, 1
	v_or_b32_e32 v1, s1, v0
	s_add_i32 s0, s0, s15
	v_lshl_or_b32 v0, s15, 7, v0
	s_ashr_i32 s1, s0, 31
	v_ashrrev_i32_e32 v2, 31, v1
	s_lshl_b64 s[0:1], s[0:1], 3
	s_add_u32 s0, s18, s0
	s_addc_u32 s1, s19, s1
	v_lshlrev_b64 v[1:2], 2, v[1:2]
	s_load_dwordx2 s[0:1], s[0:1], 0x0
	s_add_i32 s8, s6, -1
	s_sub_i32 s2, 0, s9
	v_add_co_u32 v1, vcc_lo, s16, v1
	v_add_co_ci_u32_e64 v2, null, s17, v2, vcc_lo
	global_load_dword v3, v[1:2], off
	s_waitcnt lgkmcnt(0)
	v_mov_b32_e32 v5, s1
	v_mov_b32_e32 v6, s0
.LBB21_9:                               ; =>This Inner Loop Header: Depth=1
	s_mul_hi_i32 s5, s8, s3
	s_mul_i32 s6, s8, s3
	s_cmp_lg_u64 s[4:5], 0
	s_mov_b32 s7, -1
                                        ; implicit-def: $sgpr0_sgpr1
	s_cbranch_scc0 .LBB21_11
; %bb.10:                               ;   in Loop: Header=BB21_9 Depth=1
	s_add_u32 s0, s9, 0
	s_addc_u32 s1, 0, 0
	s_xor_b64 s[0:1], s[0:1], 0
	v_cvt_f32_u32_e32 v7, s0
	v_cvt_f32_u32_e32 v8, s1
	s_sub_u32 s17, 0, s0
	s_subb_u32 s22, 0, s1
	v_fmac_f32_e32 v7, 0x4f800000, v8
	v_rcp_f32_e32 v7, v7
	v_mul_f32_e32 v7, 0x5f7ffffc, v7
	v_mul_f32_e32 v8, 0x2f800000, v7
	v_trunc_f32_e32 v8, v8
	v_fmac_f32_e32 v7, 0xcf800000, v8
	v_cvt_u32_f32_e32 v8, v8
	v_cvt_u32_f32_e32 v7, v7
	v_readfirstlane_b32 s7, v8
	v_readfirstlane_b32 s16, v7
	s_mul_i32 s23, s17, s7
	s_mul_hi_u32 s25, s17, s16
	s_mul_i32 s24, s22, s16
	s_add_i32 s23, s25, s23
	s_mul_i32 s26, s17, s16
	s_add_i32 s23, s23, s24
	s_mul_hi_u32 s25, s16, s26
	s_mul_i32 s28, s16, s23
	s_mul_hi_u32 s27, s7, s26
	s_mul_i32 s24, s7, s26
	s_mul_hi_u32 s26, s16, s23
	s_add_u32 s25, s25, s28
	s_addc_u32 s26, 0, s26
	s_mul_hi_u32 s29, s7, s23
	s_add_u32 s24, s25, s24
	s_mul_i32 s23, s7, s23
	s_addc_u32 s24, s26, s27
	s_addc_u32 s25, s29, 0
	s_add_u32 s23, s24, s23
	s_addc_u32 s24, 0, s25
	s_add_u32 s16, s16, s23
	s_cselect_b32 s23, -1, 0
	s_mul_hi_u32 s25, s17, s16
	s_cmp_lg_u32 s23, 0
	s_mul_i32 s23, s17, s16
	s_addc_u32 s7, s7, s24
	s_mul_i32 s22, s22, s16
	s_mul_i32 s17, s17, s7
	s_mul_hi_u32 s24, s16, s23
	s_add_i32 s17, s25, s17
	s_mul_hi_u32 s25, s7, s23
	s_add_i32 s17, s17, s22
	s_mul_i32 s22, s7, s23
	s_mul_i32 s27, s16, s17
	s_mul_hi_u32 s26, s16, s17
	s_add_u32 s24, s24, s27
	s_addc_u32 s26, 0, s26
	s_mul_hi_u32 s23, s7, s17
	s_add_u32 s22, s24, s22
	s_mul_i32 s17, s7, s17
	s_addc_u32 s22, s26, s25
	s_addc_u32 s23, s23, 0
	s_add_u32 s17, s22, s17
	s_addc_u32 s22, 0, s23
	s_add_u32 s24, s16, s17
	s_cselect_b32 s16, -1, 0
	s_cmp_lg_u32 s16, 0
	s_addc_u32 s7, s7, s22
	s_ashr_i32 s16, s5, 31
	s_add_u32 s22, s6, s16
	s_mov_b32 s17, s16
	s_addc_u32 s23, s5, s16
	s_xor_b64 s[22:23], s[22:23], s[16:17]
	s_mul_i32 s25, s22, s7
	s_mul_hi_u32 s26, s22, s24
	s_mul_hi_u32 s5, s22, s7
	;; [unrolled: 1-line block ×3, first 2 shown]
	s_mul_i32 s24, s23, s24
	s_add_u32 s25, s26, s25
	s_addc_u32 s5, 0, s5
	s_mul_hi_u32 s27, s23, s7
	s_add_u32 s24, s25, s24
	s_mul_i32 s7, s23, s7
	s_addc_u32 s5, s5, s28
	s_addc_u32 s24, s27, 0
	s_add_u32 s5, s5, s7
	s_addc_u32 s7, 0, s24
	s_mul_hi_u32 s24, s0, s5
	s_mul_i32 s25, s0, s7
	s_mul_i32 s26, s1, s5
	s_add_i32 s24, s24, s25
	s_mul_i32 s25, s0, s5
	s_add_i32 s24, s24, s26
	s_sub_i32 s26, s23, s24
	s_sub_u32 s22, s22, s25
	s_cselect_b32 s25, -1, 0
	s_cmp_lg_u32 s25, 0
	s_subb_u32 s26, s26, s1
	s_sub_u32 s27, s22, s0
	s_cselect_b32 s28, -1, 0
	s_cmp_lg_u32 s28, 0
	s_subb_u32 s26, s26, 0
	s_cmp_ge_u32 s26, s1
	s_cselect_b32 s28, -1, 0
	s_cmp_ge_u32 s27, s0
	s_cselect_b32 s27, -1, 0
	s_cmp_eq_u32 s26, s1
	s_cselect_b32 s26, s27, s28
	s_add_u32 s27, s5, 1
	s_addc_u32 s28, s7, 0
	s_add_u32 s29, s5, 2
	s_addc_u32 s30, s7, 0
	s_cmp_lg_u32 s26, 0
	s_cselect_b32 s26, s29, s27
	s_cselect_b32 s27, s30, s28
	s_cmp_lg_u32 s25, 0
	s_subb_u32 s23, s23, s24
	s_cmp_ge_u32 s23, s1
	s_cselect_b32 s24, -1, 0
	s_cmp_ge_u32 s22, s0
	s_cselect_b32 s0, -1, 0
	s_cmp_eq_u32 s23, s1
	s_cselect_b32 s0, s0, s24
	s_cmp_lg_u32 s0, 0
	s_cselect_b32 s1, s27, s7
	s_cselect_b32 s0, s26, s5
	s_xor_b64 s[16:17], s[16:17], 0
	s_mov_b32 s7, 0
	s_xor_b64 s[0:1], s[0:1], s[16:17]
	s_sub_u32 s0, s0, s16
.LBB21_11:                              ;   in Loop: Header=BB21_9 Depth=1
	s_andn2_b32 vcc_lo, exec_lo, s7
	s_cbranch_vccnz .LBB21_13
; %bb.12:                               ;   in Loop: Header=BB21_9 Depth=1
	v_readfirstlane_b32 s0, v4
	s_mul_i32 s1, s2, s0
	s_mul_hi_u32 s1, s0, s1
	s_add_i32 s0, s0, s1
	s_mul_hi_u32 s0, s6, s0
	s_mul_i32 s1, s0, s9
	s_add_i32 s5, s0, 1
	s_sub_i32 s1, s6, s1
	s_sub_i32 s6, s1, s9
	s_cmp_ge_u32 s1, s9
	s_cselect_b32 s0, s5, s0
	s_cselect_b32 s1, s6, s1
	s_add_i32 s5, s0, 1
	s_cmp_ge_u32 s1, s9
	s_cselect_b32 s0, s5, s0
.LBB21_13:                              ;   in Loop: Header=BB21_9 Depth=1
	s_cmp_lg_u32 s10, s0
	s_mov_b32 s6, -1
                                        ; implicit-def: $sgpr5
                                        ; implicit-def: $vgpr8
                                        ; implicit-def: $vgpr7
                                        ; implicit-def: $vgpr9
                                        ; implicit-def: $sgpr1
                                        ; implicit-def: $sgpr16
	s_cbranch_scc0 .LBB21_18
; %bb.14:                               ;   in Loop: Header=BB21_9 Depth=1
	s_add_i32 s1, s8, s9
	s_mov_b32 s7, s4
	s_lshl_b32 s1, s1, 1
	s_mov_b32 s16, s10
	s_add_i32 s6, s1, s15
	s_mul_hi_u32 s1, s0, s12
	s_lshl_b64 s[6:7], s[6:7], 3
	s_add_u32 s6, s18, s6
	s_addc_u32 s7, s19, s7
	s_add_i32 s1, s1, s0
	s_lshr_b32 s1, s1, s13
	s_mul_i32 s5, s1, s14
	s_cmp_eq_u32 s5, s0
	s_cselect_b32 s5, -1, 0
	s_cmp_lt_u32 s1, s11
	s_cselect_b32 s1, -1, 0
	s_or_b32 s1, s1, s5
	s_mov_b32 s5, -1
	s_and_b32 vcc_lo, exec_lo, s1
	s_mov_b32 s1, s8
	s_cbranch_vccnz .LBB21_16
; %bb.15:                               ;   in Loop: Header=BB21_9 Depth=1
	s_add_i32 s1, s8, -1
	s_mov_b32 s5, 0
	s_mov_b32 s16, s0
.LBB21_16:                              ;   in Loop: Header=BB21_9 Depth=1
	v_lshl_add_u32 v7, s8, 8, v0
	s_load_dwordx2 s[6:7], s[6:7], 0x0
	v_ashrrev_i32_e32 v8, 31, v7
	v_lshlrev_b64 v[7:8], 2, v[7:8]
	v_add_co_u32 v7, vcc_lo, s20, v7
	v_add_co_ci_u32_e64 v8, null, s21, v8, vcc_lo
	s_waitcnt lgkmcnt(0)
	v_max_f32_e64 v9, s6, s6
	global_load_dword v8, v[7:8], off
	v_max_f32_e32 v7, v6, v6
	v_max_f32_e32 v7, v7, v9
	v_sub_f32_e32 v9, s6, v7
	v_sub_f32_e32 v10, v6, v7
	v_mul_f32_e32 v11, 0x3fb8aa3b, v9
	v_mul_f32_e32 v12, 0x3fb8aa3b, v10
	v_cmp_ngt_f32_e32 vcc_lo, 0xc2ce8ed0, v9
	v_fma_f32 v13, 0x3fb8aa3b, v9, -v11
	v_rndne_f32_e32 v14, v11
	v_fma_f32 v15, 0x3fb8aa3b, v10, -v12
	v_rndne_f32_e32 v16, v12
	v_fmac_f32_e32 v13, 0x32a5705f, v9
	v_sub_f32_e32 v11, v11, v14
	v_fmac_f32_e32 v15, 0x32a5705f, v10
	v_sub_f32_e32 v12, v12, v16
	v_add_f32_e32 v11, v11, v13
	v_cvt_i32_f32_e32 v13, v14
	v_add_f32_e32 v12, v12, v15
	v_cvt_i32_f32_e32 v14, v16
	v_exp_f32_e32 v11, v11
	v_exp_f32_e32 v12, v12
	v_ldexp_f32 v11, v11, v13
	v_ldexp_f32 v12, v12, v14
	v_cndmask_b32_e32 v11, 0, v11, vcc_lo
	v_cmp_ngt_f32_e32 vcc_lo, 0xc2ce8ed0, v10
	v_cndmask_b32_e32 v12, 0, v12, vcc_lo
	v_cmp_nlt_f32_e32 vcc_lo, 0x42b17218, v9
	v_cndmask_b32_e32 v11, 0x7f800000, v11, vcc_lo
	v_cmp_nlt_f32_e32 vcc_lo, 0x42b17218, v10
	v_cndmask_b32_e32 v12, 0x7f800000, v12, vcc_lo
	v_cmp_le_f32_e32 vcc_lo, 0xc1a00000, v9
	v_cndmask_b32_e32 v9, 0, v11, vcc_lo
	v_cmp_le_f32_e32 vcc_lo, 0xc1a00000, v10
	v_cndmask_b32_e32 v10, 0, v12, vcc_lo
	s_waitcnt vmcnt(0)
	v_mul_f32_e32 v8, v8, v9
	v_mul_f32_e32 v9, s7, v9
	v_fmac_f32_e32 v8, v3, v10
	v_fmac_f32_e32 v9, v5, v10
	s_cbranch_execz .LBB21_19
.LBB21_17:                              ;   in Loop: Header=BB21_9 Depth=1
	s_andn2_b32 vcc_lo, exec_lo, s5
	s_cbranch_vccnz .LBB21_20
	s_branch .LBB21_23
.LBB21_18:                              ;   in Loop: Header=BB21_9 Depth=1
	s_andn2_b32 vcc_lo, exec_lo, s6
	s_cbranch_vccnz .LBB21_17
.LBB21_19:                              ;   in Loop: Header=BB21_9 Depth=1
	v_mov_b32_e32 v9, v5
	v_mov_b32_e32 v7, v6
	s_waitcnt vmcnt(0)
	v_mov_b32_e32 v8, v3
	s_add_i32 s1, s8, -1
	s_mov_b32 s16, s10
	s_cbranch_execz .LBB21_23
.LBB21_20:                              ;   in Loop: Header=BB21_9 Depth=1
	v_mov_b32_e32 v5, v9
	v_mov_b32_e32 v6, v7
	s_waitcnt vmcnt(0)
	v_mov_b32_e32 v3, v8
	s_mov_b32 s10, s16
	s_mov_b32 s8, s1
	s_branch .LBB21_9
.LBB21_21:
                                        ; implicit-def: $sgpr10_sgpr11
	s_load_dwordx4 s[12:15], s[4:5], 0x44
	s_branch .LBB21_2
.LBB21_22:
                                        ; implicit-def: $sgpr18_sgpr19
	s_branch .LBB21_5
.LBB21_23:
	v_div_scale_f32 v0, null, v9, v9, v8
	s_waitcnt vmcnt(0)
	v_rcp_f32_e32 v3, v0
	v_fma_f32 v4, -v0, v3, 1.0
	v_fmac_f32_e32 v3, v4, v3
	v_div_scale_f32 v4, vcc_lo, v8, v9, v8
	v_mul_f32_e32 v5, v4, v3
	v_fma_f32 v6, -v0, v5, v4
	v_fmac_f32_e32 v5, v6, v3
	v_fma_f32 v0, -v0, v5, v4
	v_div_fmas_f32 v0, v0, v3, v5
	v_div_fixup_f32 v0, v0, v9, v8
	global_store_dword v[1:2], v0, off
.LBB21_24:
	s_endpgm
	.section	.rodata,"a",@progbits
	.p2align	6, 0x0
	.amdhsa_kernel _ZL33flash_attn_stream_k_fixup_generalILi128ELi2ELi1EEvPfPK15HIP_vector_typeIfLj2EEiiiiS1_IjLj3EES5_S5_S5_
		.amdhsa_group_segment_fixed_size 0
		.amdhsa_private_segment_fixed_size 0
		.amdhsa_kernarg_size 336
		.amdhsa_user_sgpr_count 6
		.amdhsa_user_sgpr_private_segment_buffer 1
		.amdhsa_user_sgpr_dispatch_ptr 0
		.amdhsa_user_sgpr_queue_ptr 0
		.amdhsa_user_sgpr_kernarg_segment_ptr 1
		.amdhsa_user_sgpr_dispatch_id 0
		.amdhsa_user_sgpr_flat_scratch_init 0
		.amdhsa_user_sgpr_private_segment_size 0
		.amdhsa_wavefront_size32 1
		.amdhsa_uses_dynamic_stack 0
		.amdhsa_system_sgpr_private_segment_wavefront_offset 0
		.amdhsa_system_sgpr_workgroup_id_x 1
		.amdhsa_system_sgpr_workgroup_id_y 1
		.amdhsa_system_sgpr_workgroup_id_z 1
		.amdhsa_system_sgpr_workgroup_info 0
		.amdhsa_system_vgpr_workitem_id 0
		.amdhsa_next_free_vgpr 17
		.amdhsa_next_free_sgpr 31
		.amdhsa_reserve_vcc 1
		.amdhsa_reserve_flat_scratch 0
		.amdhsa_float_round_mode_32 0
		.amdhsa_float_round_mode_16_64 0
		.amdhsa_float_denorm_mode_32 3
		.amdhsa_float_denorm_mode_16_64 3
		.amdhsa_dx10_clamp 1
		.amdhsa_ieee_mode 1
		.amdhsa_fp16_overflow 0
		.amdhsa_workgroup_processor_mode 1
		.amdhsa_memory_ordered 1
		.amdhsa_forward_progress 1
		.amdhsa_shared_vgpr_count 0
		.amdhsa_exception_fp_ieee_invalid_op 0
		.amdhsa_exception_fp_denorm_src 0
		.amdhsa_exception_fp_ieee_div_zero 0
		.amdhsa_exception_fp_ieee_overflow 0
		.amdhsa_exception_fp_ieee_underflow 0
		.amdhsa_exception_fp_ieee_inexact 0
		.amdhsa_exception_int_div_zero 0
	.end_amdhsa_kernel
	.section	.text._ZL33flash_attn_stream_k_fixup_generalILi128ELi2ELi1EEvPfPK15HIP_vector_typeIfLj2EEiiiiS1_IjLj3EES5_S5_S5_,"axG",@progbits,_ZL33flash_attn_stream_k_fixup_generalILi128ELi2ELi1EEvPfPK15HIP_vector_typeIfLj2EEiiiiS1_IjLj3EES5_S5_S5_,comdat
.Lfunc_end21:
	.size	_ZL33flash_attn_stream_k_fixup_generalILi128ELi2ELi1EEvPfPK15HIP_vector_typeIfLj2EEiiiiS1_IjLj3EES5_S5_S5_, .Lfunc_end21-_ZL33flash_attn_stream_k_fixup_generalILi128ELi2ELi1EEvPfPK15HIP_vector_typeIfLj2EEiiiiS1_IjLj3EES5_S5_S5_
                                        ; -- End function
	.set _ZL33flash_attn_stream_k_fixup_generalILi128ELi2ELi1EEvPfPK15HIP_vector_typeIfLj2EEiiiiS1_IjLj3EES5_S5_S5_.num_vgpr, 17
	.set _ZL33flash_attn_stream_k_fixup_generalILi128ELi2ELi1EEvPfPK15HIP_vector_typeIfLj2EEiiiiS1_IjLj3EES5_S5_S5_.num_agpr, 0
	.set _ZL33flash_attn_stream_k_fixup_generalILi128ELi2ELi1EEvPfPK15HIP_vector_typeIfLj2EEiiiiS1_IjLj3EES5_S5_S5_.numbered_sgpr, 31
	.set _ZL33flash_attn_stream_k_fixup_generalILi128ELi2ELi1EEvPfPK15HIP_vector_typeIfLj2EEiiiiS1_IjLj3EES5_S5_S5_.num_named_barrier, 0
	.set _ZL33flash_attn_stream_k_fixup_generalILi128ELi2ELi1EEvPfPK15HIP_vector_typeIfLj2EEiiiiS1_IjLj3EES5_S5_S5_.private_seg_size, 0
	.set _ZL33flash_attn_stream_k_fixup_generalILi128ELi2ELi1EEvPfPK15HIP_vector_typeIfLj2EEiiiiS1_IjLj3EES5_S5_S5_.uses_vcc, 1
	.set _ZL33flash_attn_stream_k_fixup_generalILi128ELi2ELi1EEvPfPK15HIP_vector_typeIfLj2EEiiiiS1_IjLj3EES5_S5_S5_.uses_flat_scratch, 0
	.set _ZL33flash_attn_stream_k_fixup_generalILi128ELi2ELi1EEvPfPK15HIP_vector_typeIfLj2EEiiiiS1_IjLj3EES5_S5_S5_.has_dyn_sized_stack, 0
	.set _ZL33flash_attn_stream_k_fixup_generalILi128ELi2ELi1EEvPfPK15HIP_vector_typeIfLj2EEiiiiS1_IjLj3EES5_S5_S5_.has_recursion, 0
	.set _ZL33flash_attn_stream_k_fixup_generalILi128ELi2ELi1EEvPfPK15HIP_vector_typeIfLj2EEiiiiS1_IjLj3EES5_S5_S5_.has_indirect_call, 0
	.section	.AMDGPU.csdata,"",@progbits
; Kernel info:
; codeLenInByte = 2936
; TotalNumSgprs: 33
; NumVgprs: 17
; ScratchSize: 0
; MemoryBound: 0
; FloatMode: 240
; IeeeMode: 1
; LDSByteSize: 0 bytes/workgroup (compile time only)
; SGPRBlocks: 0
; VGPRBlocks: 2
; NumSGPRsForWavesPerEU: 33
; NumVGPRsForWavesPerEU: 17
; Occupancy: 16
; WaveLimiterHint : 0
; COMPUTE_PGM_RSRC2:SCRATCH_EN: 0
; COMPUTE_PGM_RSRC2:USER_SGPR: 6
; COMPUTE_PGM_RSRC2:TRAP_HANDLER: 0
; COMPUTE_PGM_RSRC2:TGID_X_EN: 1
; COMPUTE_PGM_RSRC2:TGID_Y_EN: 1
; COMPUTE_PGM_RSRC2:TGID_Z_EN: 1
; COMPUTE_PGM_RSRC2:TIDIG_COMP_CNT: 0
	.section	.text._ZL18flash_attn_ext_vecILi128ELi2EL9ggml_type2ELS0_2ELb1EEvPKcS2_S2_S2_S2_PKiPfP15HIP_vector_typeIfLj2EEffffjfiS6_IjLj3EEiiiiiiiiiiiliiliiiiil,"axG",@progbits,_ZL18flash_attn_ext_vecILi128ELi2EL9ggml_type2ELS0_2ELb1EEvPKcS2_S2_S2_S2_PKiPfP15HIP_vector_typeIfLj2EEffffjfiS6_IjLj3EEiiiiiiiiiiiliiliiiiil,comdat
	.globl	_ZL18flash_attn_ext_vecILi128ELi2EL9ggml_type2ELS0_2ELb1EEvPKcS2_S2_S2_S2_PKiPfP15HIP_vector_typeIfLj2EEffffjfiS6_IjLj3EEiiiiiiiiiiiliiliiiiil ; -- Begin function _ZL18flash_attn_ext_vecILi128ELi2EL9ggml_type2ELS0_2ELb1EEvPKcS2_S2_S2_S2_PKiPfP15HIP_vector_typeIfLj2EEffffjfiS6_IjLj3EEiiiiiiiiiiiliiliiiiil
	.p2align	8
	.type	_ZL18flash_attn_ext_vecILi128ELi2EL9ggml_type2ELS0_2ELb1EEvPKcS2_S2_S2_S2_PKiPfP15HIP_vector_typeIfLj2EEffffjfiS6_IjLj3EEiiiiiiiiiiiliiliiiiil,@function
_ZL18flash_attn_ext_vecILi128ELi2EL9ggml_type2ELS0_2ELb1EEvPKcS2_S2_S2_S2_PKiPfP15HIP_vector_typeIfLj2EEffffjfiS6_IjLj3EEiiiiiiiiiiiliiliiiiil: ; @_ZL18flash_attn_ext_vecILi128ELi2EL9ggml_type2ELS0_2ELb1EEvPKcS2_S2_S2_S2_PKiPfP15HIP_vector_typeIfLj2EEffffjfiS6_IjLj3EEiiiiiiiiiiiliiliiiiil
; %bb.0:
	s_clause 0x2
	s_load_dwordx2 s[36:37], s[6:7], 0x64
	s_load_dwordx2 s[42:43], s[6:7], 0x80
	;; [unrolled: 1-line block ×3, first 2 shown]
	s_mov_b32 s34, s9
	s_clause 0x1
	s_load_dwordx4 s[28:31], s[6:7], 0x40
	s_load_dwordx2 s[40:41], s[6:7], 0x50
	v_mov_b32_e32 v77, 1.0
	s_waitcnt lgkmcnt(0)
	v_cvt_f32_u32_e32 v3, s37
	s_sub_i32 s1, 0, s37
	v_rcp_iflag_f32_e32 v3, v3
	v_mul_f32_e32 v3, 0x4f7ffffe, v3
	v_cvt_u32_f32_e32 v3, v3
	v_readfirstlane_b32 s0, v3
	s_mul_i32 s1, s1, s0
	s_mul_hi_u32 s1, s0, s1
	s_add_i32 s0, s0, s1
	s_mul_hi_u32 s0, s10, s0
	s_mul_i32 s1, s0, s37
	s_add_i32 s2, s0, 1
	s_sub_i32 s1, s10, s1
	s_sub_i32 s3, s1, s37
	s_cmp_ge_u32 s1, s37
	s_cselect_b32 s0, s2, s0
	s_cselect_b32 s1, s3, s1
	s_add_i32 s2, s0, 1
	s_cmp_ge_u32 s1, s37
	s_cselect_b32 s33, s2, s0
	s_abs_i32 s0, s43
	s_abs_i32 s9, s37
	v_cvt_f32_u32_e32 v3, s0
	s_sub_i32 s2, 0, s0
	s_xor_b32 s3, s37, s43
	s_ashr_i32 s3, s3, 31
	v_rcp_iflag_f32_e32 v3, v3
	v_mul_f32_e32 v3, 0x4f7ffffe, v3
	v_cvt_u32_f32_e32 v3, v3
	v_readfirstlane_b32 s1, v3
	s_mul_i32 s2, s2, s1
	s_mul_hi_u32 s2, s1, s2
	s_add_i32 s1, s1, s2
	s_mul_i32 s2, s33, s37
	s_mul_hi_u32 s1, s9, s1
	s_sub_i32 s38, s10, s2
	s_mul_i32 s11, s1, s0
	s_sub_i32 s2, s9, s11
	s_add_i32 s9, s1, 1
	s_sub_i32 s10, s2, s0
	s_cmp_ge_u32 s2, s0
	s_cselect_b32 s1, s9, s1
	s_cselect_b32 s2, s10, s2
	s_add_i32 s9, s1, 1
	s_cmp_ge_u32 s2, s0
	s_cselect_b32 s0, s9, s1
	s_abs_i32 s35, s44
	s_xor_b32 s0, s0, s3
	v_cvt_f32_u32_e32 v3, s35
	s_sub_i32 s43, s0, s3
	v_cmp_le_f32_e64 s0, s29, 0
	s_abs_i32 s39, s43
	v_cvt_f32_u32_e32 v4, s39
	v_rcp_iflag_f32_e32 v3, v3
	s_and_b32 vcc_lo, exec_lo, s0
	v_rcp_iflag_f32_e32 v4, v4
	v_mul_f32_e32 v3, 0x4f7ffffe, v3
	v_mul_f32_e32 v4, 0x4f7ffffe, v4
	v_cvt_u32_f32_e32 v3, v3
	v_cvt_u32_f32_e32 v4, v4
	v_readfirstlane_b32 s29, v3
	v_readfirstlane_b32 s44, v4
	s_cbranch_vccnz .LBB22_2
; %bb.1:
	v_sub_co_u32 v4, vcc_lo, s38, s40
	v_mov_b32_e32 v3, s30
	s_add_i32 s0, s38, 1
	v_lshlrev_b32_e32 v4, 1, v4
	v_cndmask_b32_e32 v3, s31, v3, vcc_lo
	v_or_b32_e32 v4, 1, v4
	v_cndmask_b32_e64 v4, v4, s0, vcc_lo
	v_cmp_neq_f32_e32 vcc_lo, 1.0, v3
	s_mov_b32 s0, 0x3e76c4e1
	v_cvt_f32_i32_e32 v4, v4
	v_cndmask_b32_e32 v5, 1.0, v4, vcc_lo
	v_cmp_neq_f32_e32 vcc_lo, 0, v5
	v_cndmask_b32_e32 v6, 1.0, v3, vcc_lo
	v_frexp_mant_f32_e64 v3, |v6|
	v_cmp_eq_f32_e64 s2, 0, v6
	v_cmp_gt_f32_e32 vcc_lo, 0x3f2aaaab, v3
	v_cndmask_b32_e64 v4, 1.0, 2.0, vcc_lo
	v_mul_f32_e32 v3, v3, v4
	v_add_f32_e32 v4, 1.0, v3
	v_add_f32_e32 v8, -1.0, v3
	v_rcp_f32_e32 v7, v4
	v_add_f32_e32 v10, -1.0, v4
	v_sub_f32_e32 v3, v3, v10
	v_mul_f32_e32 v9, v8, v7
	v_mul_f32_e32 v11, v4, v9
	v_fma_f32 v4, v9, v4, -v11
	v_fmac_f32_e32 v4, v9, v3
	v_add_f32_e32 v3, v11, v4
	v_sub_f32_e32 v10, v8, v3
	v_sub_f32_e32 v11, v3, v11
	;; [unrolled: 1-line block ×5, first 2 shown]
	v_add_f32_e32 v3, v4, v3
	v_add_f32_e32 v3, v10, v3
	v_mul_f32_e32 v3, v7, v3
	v_add_f32_e32 v7, v9, v3
	v_sub_f32_e32 v4, v7, v9
	v_mul_f32_e32 v8, v7, v7
	v_sub_f32_e32 v9, v3, v4
	v_fma_f32 v3, v7, v7, -v8
	v_add_f32_e32 v4, v9, v9
	v_fmac_f32_e32 v3, v7, v4
	v_add_f32_e32 v10, v8, v3
	v_fmaak_f32 v4, s0, v10, 0x3e91f4c4
	v_sub_f32_e32 v8, v10, v8
	v_mul_f32_e32 v15, v7, v10
	v_fmaak_f32 v4, v10, v4, 0x3ecccdef
	v_sub_f32_e32 v8, v3, v8
	v_fma_f32 v16, v10, v7, -v15
	v_mul_f32_e32 v11, v10, v4
	v_fmac_f32_e32 v16, v10, v9
	v_ldexp_f32 v9, v9, 1
	v_fma_f32 v12, v10, v4, -v11
	v_fmac_f32_e32 v16, v8, v7
	v_fmac_f32_e32 v12, v8, v4
	v_cvt_f64_f32_e64 v[3:4], |v6|
	v_add_f32_e32 v13, v11, v12
	v_sub_f32_e32 v11, v13, v11
	v_add_f32_e32 v14, 0x3f2aaaaa, v13
	v_sub_f32_e32 v11, v12, v11
	v_add_f32_e32 v12, 0xbf2aaaaa, v14
	v_add_f32_e32 v11, 0x31739010, v11
	v_sub_f32_e32 v12, v13, v12
	v_frexp_exp_i32_f64_e32 v3, v[3:4]
	v_add_f32_e32 v10, v11, v12
	v_add_f32_e32 v11, v15, v16
	v_add_f32_e32 v8, v14, v10
	v_sub_f32_e32 v13, v11, v15
	v_sub_f32_e32 v4, v14, v8
	v_mul_f32_e32 v12, v11, v8
	v_sub_f32_e32 v13, v16, v13
	v_add_f32_e32 v4, v10, v4
	v_fma_f32 v10, v11, v8, -v12
	v_subrev_co_ci_u32_e64 v3, null, 0, v3, vcc_lo
	v_fmac_f32_e32 v10, v11, v4
	v_ldexp_f32 v4, v7, 1
	v_cvt_f32_i32_e32 v3, v3
	v_fmac_f32_e32 v10, v13, v8
	v_add_f32_e32 v7, v12, v10
	v_add_f32_e32 v8, v4, v7
	v_sub_f32_e32 v11, v7, v12
	v_mul_f32_e32 v12, 0x3f317218, v3
	v_sub_f32_e32 v4, v8, v4
	v_sub_f32_e32 v10, v10, v11
	v_fma_f32 v11, 0x3f317218, v3, -v12
	v_sub_f32_e32 v4, v7, v4
	v_add_f32_e32 v7, v9, v10
	v_fmamk_f32 v3, v3, 0xb102e308, v11
	v_add_f32_e32 v4, v7, v4
	v_add_f32_e32 v7, v12, v3
	;; [unrolled: 1-line block ×3, first 2 shown]
	v_sub_f32_e32 v12, v7, v12
	v_add_f32_e32 v10, v7, v9
	v_sub_f32_e32 v8, v9, v8
	v_sub_f32_e32 v3, v3, v12
	;; [unrolled: 1-line block ×6, first 2 shown]
	v_add_f32_e32 v9, v3, v4
	v_sub_f32_e32 v7, v7, v13
	v_add_f32_e32 v7, v8, v7
	v_sub_f32_e32 v8, v9, v3
	;; [unrolled: 2-line block ×3, first 2 shown]
	v_sub_f32_e32 v4, v4, v8
	v_add_f32_e32 v11, v10, v7
	v_sub_f32_e32 v3, v3, v9
	v_sub_f32_e32 v8, v11, v10
	v_add_f32_e32 v3, v4, v3
	v_sub_f32_e32 v4, v7, v8
	v_add_f32_e32 v3, v3, v4
	v_add_f32_e32 v4, v11, v3
	v_sub_f32_e32 v7, v4, v11
	v_mul_f32_e32 v8, v5, v4
	v_sub_f32_e32 v3, v3, v7
	v_fma_f32 v4, v5, v4, -v8
	v_cmp_class_f32_e64 vcc_lo, v8, 0x204
	v_fmac_f32_e32 v4, v5, v3
	v_add_f32_e32 v3, v8, v4
	v_cndmask_b32_e32 v7, v3, v8, vcc_lo
	v_sub_f32_e32 v3, v3, v8
	v_cmp_eq_f32_e32 vcc_lo, 0x42b17218, v7
	v_sub_f32_e32 v3, v4, v3
	v_cndmask_b32_e64 v9, 0, 0x37000000, vcc_lo
	v_cmp_neq_f32_e64 vcc_lo, 0x7f800000, |v7|
	v_sub_f32_e32 v10, v7, v9
	v_cndmask_b32_e32 v3, 0, v3, vcc_lo
	v_trunc_f32_e32 v7, v5
	v_mul_f32_e32 v11, 0x3fb8aa3b, v10
	v_cmp_ngt_f32_e32 vcc_lo, 0xc2ce8ed0, v10
	v_add_f32_e32 v3, v9, v3
	v_fma_f32 v12, 0x3fb8aa3b, v10, -v11
	v_rndne_f32_e32 v13, v11
	v_fmamk_f32 v12, v10, 0x32a5705f, v12
	v_sub_f32_e32 v11, v11, v13
	v_cvt_i32_f32_e32 v8, v13
	v_add_f32_e32 v11, v11, v12
	v_exp_f32_e32 v11, v11
	v_ldexp_f32 v4, v11, v8
	v_mul_f32_e32 v8, 0.5, v5
	v_cndmask_b32_e32 v4, 0, v4, vcc_lo
	v_cmp_nlt_f32_e32 vcc_lo, 0x42b17218, v10
	v_trunc_f32_e32 v11, v8
	v_cndmask_b32_e32 v4, 0x7f800000, v4, vcc_lo
	v_cmp_eq_f32_e32 vcc_lo, v7, v5
	v_cmp_neq_f32_e64 s0, v11, v8
	v_fma_f32 v3, v4, v3, v4
	v_cmp_class_f32_e64 s1, v4, 0x204
	s_and_b32 s0, vcc_lo, s0
	v_cndmask_b32_e64 v7, 1.0, v6, s0
	v_cndmask_b32_e64 v3, v3, v4, s1
	v_cmp_gt_f32_e64 s1, 0, v5
	v_bfi_b32 v3, 0x7fffffff, v3, v7
	s_xor_b32 s1, s1, s2
	v_cndmask_b32_e64 v7, 0, v6, s0
	v_cndmask_b32_e64 v4, 0x7f800000, 0, s1
	v_cmp_class_f32_e64 s0, v6, 0x204
	v_cndmask_b32_e32 v5, 0x7fc00000, v3, vcc_lo
	v_cmp_gt_f32_e32 vcc_lo, 0, v6
	v_bfi_b32 v4, 0x7fffffff, v4, v7
	v_cndmask_b32_e32 v3, v3, v5, vcc_lo
	s_or_b32 vcc_lo, s2, s0
	v_cndmask_b32_e32 v3, v3, v4, vcc_lo
	v_cmp_o_f32_e32 vcc_lo, v6, v6
	v_cndmask_b32_e32 v77, 0x7fc00000, v3, vcc_lo
.LBB22_2:
	s_load_dwordx2 s[0:1], s[4:5], 0x4
	s_load_dwordx16 s[12:27], s[6:7], 0x0
	v_mov_b32_e32 v14, 0
	v_lshlrev_b32_e32 v72, 8, v1
	v_lshlrev_b32_e32 v74, 2, v0
	s_lshl_b32 s30, s8, 1
	s_mov_b32 s4, exec_lo
	s_waitcnt lgkmcnt(0)
	v_mul_u32_u24_e32 v3, s1, v1
	s_lshr_b32 s0, s0, 16
	s_mul_i32 s0, s0, s1
	v_mad_u32_u24 v3, s0, v0, v3
	v_cmp_lt_u32_e64 s0, 1, v1
	v_add_lshl_u32 v20, v3, v2, 4
	v_add_nc_u32_e32 v2, 0x604, v20
	v_add_nc_u32_e32 v3, 0x400, v20
	ds_write2_b32 v2, v14, v14 offset1:1
	ds_write2_b32 v3, v14, v14 offset0:128 offset1:131
	v_cmpx_gt_u32_e32 2, v1
	s_cbranch_execz .LBB22_13
; %bb.3:
	v_or_b32_e32 v2, s30, v1
	v_add_nc_u32_e32 v3, v72, v74
	s_mov_b32 s1, exec_lo
	v_cmpx_le_i32_e64 s36, v2
	s_xor_b32 s1, exec_lo, s1
	s_cbranch_execz .LBB22_7
; %bb.4:
	v_mov_b32_e32 v2, 0
	s_mov_b32 s2, exec_lo
	ds_write_b32 v3, v2
	v_cmpx_gt_u32_e32 4, v0
; %bb.5:
	v_add_nc_u32_e32 v4, v3, v74
	v_mov_b32_e32 v3, v2
	ds_write_b64 v4, v[2:3] offset:128
; %bb.6:
	s_or_b32 exec_lo, exec_lo, s2
                                        ; implicit-def: $vgpr3
.LBB22_7:
	s_andn2_saveexec_b32 s1, s1
	s_cbranch_execz .LBB22_13
; %bb.8:
	s_load_dwordx4 s[48:51], s[6:7], 0x70
	v_lshlrev_b32_e32 v4, 2, v74
	s_mov_b32 s5, exec_lo
	s_waitcnt lgkmcnt(0)
	v_mul_lo_u32 v2, s48, v1
	s_mul_i32 s1, s33, s50
	s_mul_i32 s2, s48, s30
	;; [unrolled: 1-line block ×3, first 2 shown]
	s_add_i32 s1, s1, s2
	s_add_i32 s1, s1, s3
	s_ashr_i32 s2, s1, 31
	v_ashrrev_i32_e32 v5, 31, v2
	s_add_u32 s1, s12, s1
	s_addc_u32 s2, s13, s2
	v_add_co_u32 v2, vcc_lo, s1, v2
	v_add_co_ci_u32_e64 v5, null, s2, v5, vcc_lo
	v_add_co_u32 v4, vcc_lo, v2, v4
	v_add_co_ci_u32_e64 v5, null, 0, v5, vcc_lo
	v_mbcnt_lo_u32_b32 v2, -1, 0
	global_load_dwordx4 v[10:13], v[4:5], off
	v_xor_b32_e32 v5, 4, v2
	v_xor_b32_e32 v15, 2, v2
	;; [unrolled: 1-line block ×3, first 2 shown]
	v_cmp_gt_i32_e32 vcc_lo, 32, v5
	v_cndmask_b32_e32 v5, v2, v5, vcc_lo
	v_cmp_gt_i32_e32 vcc_lo, 32, v15
	v_lshlrev_b32_e32 v5, 2, v5
	v_cndmask_b32_e32 v15, v2, v15, vcc_lo
	v_cmp_gt_i32_e32 vcc_lo, 32, v16
	v_lshlrev_b32_e32 v15, 2, v15
	v_cndmask_b32_e32 v2, v2, v16, vcc_lo
	v_lshlrev_b32_e32 v2, 2, v2
	s_waitcnt vmcnt(0)
	v_mul_f32_e32 v4, s28, v10
	v_mul_f32_e32 v6, s28, v11
	;; [unrolled: 1-line block ×4, first 2 shown]
	v_max_f32_e64 v7, |v4|, |v6|
	v_fma_f32 v10, s28, v10, v6
	v_max3_f32 v7, v7, |v9|, |v8|
	v_fmac_f32_e32 v10, s28, v12
	ds_bpermute_b32 v11, v5, v7
	v_fmac_f32_e32 v10, s28, v13
	ds_bpermute_b32 v5, v5, v10
	s_waitcnt lgkmcnt(1)
	v_max_f32_e32 v11, v11, v11
	v_max_f32_e32 v7, v7, v11
	s_waitcnt lgkmcnt(0)
	v_add_f32_e32 v5, v10, v5
	ds_bpermute_b32 v11, v15, v7
	ds_bpermute_b32 v10, v15, v5
	s_waitcnt lgkmcnt(1)
	v_max_f32_e32 v11, v11, v11
	s_waitcnt lgkmcnt(0)
	v_add_f32_e32 v5, v5, v10
	v_mov_b32_e32 v10, 0
	v_max_f32_e32 v7, v7, v11
	ds_bpermute_b32 v11, v2, v7
	s_waitcnt lgkmcnt(0)
	v_max_f32_e32 v11, v11, v11
	v_max_f32_e32 v11, v7, v11
	v_div_scale_f32 v12, null, 0x42fe0000, 0x42fe0000, v11
	v_div_scale_f32 v15, vcc_lo, v11, 0x42fe0000, v11
	v_rcp_f32_e32 v13, v12
	v_fma_f32 v7, -v12, v13, 1.0
	v_fmac_f32_e32 v13, v7, v13
	v_mul_f32_e32 v16, v15, v13
	v_fma_f32 v7, -v12, v16, v15
	v_fmac_f32_e32 v16, v7, v13
	ds_bpermute_b32 v7, v2, v5
	v_fma_f32 v2, -v12, v16, v15
	v_div_fmas_f32 v2, v2, v13, v16
	v_div_fixup_f32 v2, v2, 0x42fe0000, v11
	v_cmpx_neq_f32_e32 0, v2
	s_cbranch_execz .LBB22_10
; %bb.9:
	v_div_scale_f32 v10, null, v2, v2, v4
	v_div_scale_f32 v11, null, v2, v2, v6
	;; [unrolled: 1-line block ×3, first 2 shown]
	v_rcp_f32_e32 v12, v10
	v_div_scale_f32 v15, null, v2, v2, v8
	v_rcp_f32_e32 v16, v11
	v_rcp_f32_e32 v17, v13
	v_div_scale_f32 v22, vcc_lo, v4, v2, v4
	v_rcp_f32_e32 v18, v15
	v_fma_f32 v19, -v10, v12, 1.0
	v_fma_f32 v21, -v11, v16, 1.0
	;; [unrolled: 1-line block ×3, first 2 shown]
	v_fmac_f32_e32 v12, v19, v12
	v_div_scale_f32 v19, s1, v6, v2, v6
	v_fma_f32 v24, -v15, v18, 1.0
	v_fmac_f32_e32 v16, v21, v16
	v_fmac_f32_e32 v17, v23, v17
	v_div_scale_f32 v21, s2, v9, v2, v9
	v_fmac_f32_e32 v18, v24, v18
	v_mul_f32_e32 v24, v22, v12
	v_mul_f32_e32 v25, v19, v16
	;; [unrolled: 1-line block ×3, first 2 shown]
	v_div_scale_f32 v23, s3, v8, v2, v8
	v_fma_f32 v28, -v10, v24, v22
	v_fma_f32 v29, -v11, v25, v19
	;; [unrolled: 1-line block ×3, first 2 shown]
	v_mul_f32_e32 v27, v23, v18
	v_fmac_f32_e32 v24, v28, v12
	v_fmac_f32_e32 v25, v29, v16
	;; [unrolled: 1-line block ×3, first 2 shown]
	v_fma_f32 v31, -v15, v27, v23
	v_fma_f32 v10, -v10, v24, v22
	;; [unrolled: 1-line block ×4, first 2 shown]
	v_fmac_f32_e32 v27, v31, v18
	v_div_fmas_f32 v10, v10, v12, v24
	s_mov_b32 vcc_lo, s1
	v_div_fmas_f32 v11, v11, v16, v25
	s_mov_b32 vcc_lo, s2
	v_div_fixup_f32 v4, v10, v2, v4
	v_div_fmas_f32 v12, v13, v17, v26
	v_fma_f32 v13, -v15, v27, v23
	s_mov_b32 vcc_lo, s3
	v_div_fixup_f32 v6, v11, v2, v6
	v_div_fixup_f32 v9, v12, v2, v9
	v_div_fmas_f32 v12, v13, v18, v27
	v_trunc_f32_e32 v11, v6
	v_trunc_f32_e32 v13, v9
	v_div_fixup_f32 v8, v12, v2, v8
	v_trunc_f32_e32 v12, v4
	v_sub_f32_e32 v16, v6, v11
	v_sub_f32_e32 v10, v9, v13
	v_trunc_f32_e32 v15, v8
	v_sub_f32_e32 v18, v4, v12
	v_cmp_ge_f32_e64 s1, |v10|, 0.5
	v_sub_f32_e32 v17, v8, v15
	v_cndmask_b32_e64 v10, 0, 1.0, s1
	v_cmp_ge_f32_e64 s1, |v16|, 0.5
	v_bfi_b32 v9, 0x7fffffff, v10, v9
	v_cndmask_b32_e64 v10, 0, 1.0, s1
	v_cmp_ge_f32_e64 s1, |v17|, 0.5
	v_add_f32_e32 v9, v13, v9
	v_bfi_b32 v6, 0x7fffffff, v10, v6
	v_cndmask_b32_e64 v16, 0, 1.0, s1
	v_cmp_ge_f32_e64 s1, |v18|, 0.5
	v_mov_b32_e32 v10, 8
	v_cvt_i32_f32_e32 v9, v9
	v_add_f32_e32 v6, v11, v6
	v_bfi_b32 v8, 0x7fffffff, v16, v8
	v_cndmask_b32_e64 v13, 0, 1.0, s1
	v_and_b32_e32 v9, 0xff, v9
	v_cvt_i32_f32_e32 v6, v6
	v_add_f32_e32 v8, v15, v8
	v_bfi_b32 v4, 0x7fffffff, v13, v4
	v_lshlrev_b32_e32 v9, 16, v9
	v_lshlrev_b32_sdwa v6, v10, v6 dst_sel:DWORD dst_unused:UNUSED_PAD src0_sel:DWORD src1_sel:BYTE_0
	v_cvt_i32_f32_e32 v8, v8
	v_add_f32_e32 v4, v12, v4
	v_lshl_or_b32 v8, v8, 24, v9
	v_cvt_i32_f32_e32 v4, v4
	v_and_b32_e32 v4, 0xff, v4
	v_or3_b32 v10, v8, v6, v4
.LBB22_10:
	s_or_b32 exec_lo, exec_lo, s5
	v_and_b32_e32 v4, 7, v0
	s_mov_b32 s1, exec_lo
	ds_write_b32 v3, v10
	v_cmpx_eq_u32_e32 0, v4
	s_cbranch_execz .LBB22_12
; %bb.11:
	s_waitcnt lgkmcnt(1)
	v_add_f32_e32 v3, v5, v7
	v_add_nc_u32_e32 v4, v72, v0
	ds_write_b64 v4, v[2:3] offset:128
.LBB22_12:
	s_or_b32 exec_lo, exec_lo, s1
.LBB22_13:
	s_or_b32 exec_lo, exec_lo, s4
	v_and_b32_e32 v21, 1, v0
	s_waitcnt lgkmcnt(0)
	s_barrier
	buffer_gl0_inv
	s_cmp_eq_u64 s[22:23], 0
	v_lshlrev_b32_e32 v18, 2, v21
	s_mov_b32 s31, s42
	ds_read_b128 v[2:5], v14 offset:128
	ds_read_b128 v[6:9], v14 offset:144
	ds_read2_b32 v[38:39], v18 offset1:2
	ds_read2_b32 v[40:41], v18 offset0:4 offset1:6
	ds_read2_b32 v[42:43], v18 offset0:8 offset1:10
	;; [unrolled: 1-line block ×12, first 2 shown]
	ds_read_b128 v[10:13], v14 offset:384
	ds_read_b128 v[14:17], v14 offset:400
	ds_read2_b32 v[64:65], v18 offset0:84 offset1:86
	ds_read2_b32 v[66:67], v18 offset0:88 offset1:90
	;; [unrolled: 1-line block ×3, first 2 shown]
	s_waitcnt lgkmcnt(0)
	s_barrier
	buffer_gl0_inv
	s_cbranch_scc1 .LBB22_15
; %bb.14:
	s_load_dword s1, s[6:7], 0xd0
	s_mov_b32 s3, 0
	s_waitcnt lgkmcnt(0)
	s_mul_i32 s1, s1, s33
	s_add_i32 s2, s1, s8
	s_lshl_b64 s[2:3], s[2:3], 2
	s_add_u32 s2, s22, s2
	s_addc_u32 s3, s23, s3
	s_load_dword s31, s[2:3], 0x0
.LBB22_15:
	v_lshlrev_b32_e32 v19, 5, v1
	v_add_nc_u32_e32 v76, 0x600, v20
	v_mbcnt_lo_u32_b32 v78, -1, 0
	s_lshl_b32 s2, s34, 7
	s_mov_b32 s3, 0
	v_add_nc_u32_e32 v73, v19, v0
	s_waitcnt lgkmcnt(0)
	s_cmp_ge_i32 s2, s31
	v_lshlrev_b32_e32 v75, 1, v73
	s_cbranch_scc1 .LBB22_43
; %bb.16:
	s_clause 0x1
	s_load_dwordx4 s[8:11], s[6:7], 0x98
	s_load_dwordx2 s[12:13], s[6:7], 0x8c
	s_sub_i32 s1, 0, s39
	s_sub_i32 s4, 0, s35
	s_mul_i32 s1, s1, s44
	s_abs_i32 s22, s38
	s_mul_hi_u32 s1, s44, s1
	s_mul_i32 s4, s4, s29
	s_add_i32 s44, s44, s1
	s_ashr_i32 s23, s38, 31
	s_ashr_i32 s40, s43, 31
	;; [unrolled: 1-line block ×3, first 2 shown]
	s_mul_hi_u32 s1, s29, s4
	s_mul_hi_u32 s4, s22, s44
	s_xor_b32 s43, s23, s40
	s_add_i32 s29, s29, s1
	s_mul_i32 s1, s4, s39
	s_abs_i32 s28, s33
	s_sub_i32 s1, s22, s1
	s_add_i32 s23, s4, 1
	s_waitcnt lgkmcnt(0)
	s_mul_hi_u32 s40, s8, s33
	s_mul_i32 s44, s8, s5
	s_mul_i32 s9, s9, s33
	s_add_i32 s40, s40, s44
	v_and_b32_e32 v20, 0x7e, v0
	s_add_i32 s40, s40, s9
	s_sub_i32 s9, s1, s39
	s_cmp_ge_u32 s1, s39
	v_bfe_u32 v26, v0, 3, 27
	s_cselect_b32 s4, s23, s4
	s_cselect_b32 s1, s9, s1
	s_add_i32 s9, s4, 1
	s_cmp_ge_u32 s1, s39
	s_load_dwordx2 s[22:23], s[6:7], 0xc8
	s_cselect_b32 s1, s9, s4
	s_mul_hi_u32 s4, s28, s29
	s_xor_b32 s1, s1, s43
	s_mul_i32 s4, s4, s35
	s_sub_i32 s46, s1, s43
	s_sub_i32 s1, s28, s4
	s_mul_i32 s43, s46, s13
	s_mul_i32 s46, s46, s11
	s_ashr_i32 s44, s43, 31
	s_ashr_i32 s47, s46, 31
	s_sub_i32 s4, s1, s35
	s_cmp_ge_u32 s1, s35
	s_mul_i32 s11, s45, s30
	s_cselect_b32 s1, s4, s1
	s_clause 0x1
	s_load_dword s4, s[6:7], 0xd4
	s_load_dwordx2 s[28:29], s[6:7], 0xa8
	s_sub_i32 s9, s1, s35
	s_cmp_ge_u32 s1, s35
	v_add_nc_u32_e32 v20, v19, v20
	s_cselect_b32 s1, s9, s1
	v_mul_hi_u32_u24_e32 v27, 18, v26
	s_xor_b32 s1, s1, s5
	v_mul_u32_u24_e32 v26, 18, v26
	s_sub_i32 s1, s1, s5
	v_add_nc_u32_e32 v22, s42, v20
	s_ashr_i32 s9, s1, 31
	s_waitcnt lgkmcnt(0)
	s_mul_hi_u32 s13, s22, s1
	s_mul_i32 s9, s22, s9
	s_mul_i32 s23, s23, s1
	s_add_i32 s45, s13, s9
	s_ashr_i32 s13, s11, 31
	s_add_i32 s45, s45, s23
	s_cmp_lg_u64 s[18:19], 0
	s_mul_i32 s48, s22, s1
	s_cselect_b32 s9, -1, 0
	s_lshl_b32 s4, s4, 7
	s_cmp_lt_i32 s30, s36
	v_ashrrev_i32_e32 v23, 31, v22
	s_cselect_b32 s1, -1, 0
	v_mul_lo_u32 v28, v19, s10
	s_and_b32 s35, s9, s1
	s_or_b32 s1, s30, 1
	v_mad_u64_u32 v[32:33], null, s28, s33, v[26:27]
	s_cmp_lt_i32 s1, s36
	v_lshlrev_b64 v[22:23], 1, v[22:23]
	s_cselect_b32 s22, -1, 0
	s_mul_i32 s29, s29, s33
	s_and_b32 s39, s9, s22
	s_ashr_i32 s9, s42, 31
	v_add_co_u32 v24, s22, s42, v20
	v_add_co_ci_u32_e64 v25, null, s9, 0, s22
	s_add_u32 s49, s14, s43
	s_addc_u32 s42, s15, s44
	s_lshl_b64 s[22:23], s[2:3], 1
	v_lshlrev_b64 v[24:25], 1, v[24:25]
	s_add_u32 s9, s18, s22
	s_addc_u32 s50, s19, s23
	s_add_u32 s9, s9, s48
	s_mul_i32 s5, s28, s5
	s_addc_u32 s50, s50, s45
	v_add_co_u32 v79, vcc_lo, s9, v22
	v_and_b32_e32 v29, 12, v74
	v_ashrrev_i32_e32 v30, 31, v28
	v_add3_u32 v33, s5, s29, v33
	v_add_co_ci_u32_e64 v80, null, s50, v23, vcc_lo
	v_add_co_u32 v24, vcc_lo, s9, v24
	v_add_nc_u32_e32 v26, 31, v19
	v_add_co_ci_u32_e64 v25, null, s50, v25, vcc_lo
	v_add_co_u32 v22, vcc_lo, v32, v28
	v_cmp_eq_u32_e64 s1, 0, v21
	v_add_nc_u32_e32 v21, s10, v28
	v_add_co_ci_u32_e64 v23, null, v33, v30, vcc_lo
	v_add_co_u32 v29, vcc_lo, v32, v29
	v_mul_lo_u32 v35, s10, v26
	v_add_co_ci_u32_e64 v34, null, 0, v33, vcc_lo
	v_add_co_u32 v26, vcc_lo, v29, v28
	v_add_nc_u32_e32 v36, 30, v19
	v_add_nc_u32_e32 v83, s10, v21
	v_add_co_ci_u32_e64 v27, null, v34, v30, vcc_lo
	v_add_co_u32 v31, vcc_lo, v29, s46
	v_add_co_ci_u32_e64 v30, null, s47, v34, vcc_lo
	v_ashrrev_i32_e32 v34, 31, v35
	v_mul_lo_u32 v70, s10, v36
	v_add_nc_u32_e32 v36, 29, v19
	v_add_nc_u32_e32 v86, s10, v83
	v_add_co_u32 v28, vcc_lo, v31, v35
	v_add_co_ci_u32_e64 v29, null, v30, v34, vcc_lo
	v_add_co_u32 v84, vcc_lo, v32, s46
	v_mul_lo_u32 v71, s10, v36
	v_add_nc_u32_e32 v87, s10, v86
	v_add_co_ci_u32_e64 v85, null, s47, v33, vcc_lo
	v_add_nc_u32_e32 v81, 28, v19
	v_add_co_u32 v32, vcc_lo, v84, v35
	v_ashrrev_i32_e32 v35, 31, v70
	v_add_nc_u32_e32 v88, s10, v87
	v_add_co_ci_u32_e64 v33, null, v85, v34, vcc_lo
	v_add_co_u32 v36, vcc_lo, v31, v70
	v_mul_lo_u32 v90, s10, v81
	v_ashrrev_i32_e32 v89, 31, v71
	v_add_co_ci_u32_e64 v37, null, v30, v35, vcc_lo
	v_add_co_u32 v34, vcc_lo, v84, v70
	v_add_nc_u32_e32 v92, 27, v19
	v_add_nc_u32_e32 v91, s10, v88
	v_add_co_ci_u32_e64 v35, null, v85, v35, vcc_lo
	v_add_co_u32 v81, vcc_lo, v31, v71
	v_add_co_ci_u32_e64 v82, null, v30, v89, vcc_lo
	v_add_co_u32 v70, vcc_lo, v84, v71
	v_mul_lo_u32 v92, s10, v92
	v_add_nc_u32_e32 v93, s10, v91
	v_add_co_ci_u32_e64 v71, null, v85, v89, vcc_lo
	v_ashrrev_i32_e32 v89, 31, v90
	v_add_nc_u32_e32 v95, 26, v19
	v_add_co_u32 v115, vcc_lo, v31, v90
	v_add_nc_u32_e32 v94, s10, v93
	v_add_co_ci_u32_e64 v116, null, v30, v89, vcc_lo
	v_add_co_u32 v119, vcc_lo, v84, v90
	v_mul_lo_u32 v90, s10, v95
	v_add_co_ci_u32_e64 v120, null, v85, v89, vcc_lo
	v_ashrrev_i32_e32 v89, 31, v92
	v_add_nc_u32_e32 v97, 25, v19
	v_add_nc_u32_e32 v96, s10, v94
	v_add_co_u32 v121, vcc_lo, v31, v92
	v_add_co_ci_u32_e64 v122, null, v30, v89, vcc_lo
	v_add_co_u32 v123, vcc_lo, v84, v92
	v_mul_lo_u32 v92, s10, v97
	v_add_co_ci_u32_e64 v124, null, v85, v89, vcc_lo
	v_ashrrev_i32_e32 v89, 31, v90
	v_add_nc_u32_e32 v95, s10, v96
	v_add_co_u32 v125, vcc_lo, v31, v90
	v_add_nc_u32_e32 v101, 24, v19
	v_add_co_ci_u32_e64 v126, null, v30, v89, vcc_lo
	v_add_co_u32 v127, vcc_lo, v84, v90
	v_add_nc_u32_e32 v98, s10, v95
	v_add_co_ci_u32_e64 v128, null, v85, v89, vcc_lo
	v_ashrrev_i32_e32 v89, 31, v92
	v_add_co_u32 v129, vcc_lo, v31, v92
	v_add_nc_u32_e32 v97, s10, v98
	v_add_nc_u32_e32 v90, 23, v19
	v_add_co_ci_u32_e64 v130, null, v30, v89, vcc_lo
	v_add_co_u32 v131, vcc_lo, v84, v92
	v_add_co_ci_u32_e64 v132, null, v85, v89, vcc_lo
	v_mul_lo_u32 v89, s10, v101
	v_add_nc_u32_e32 v99, s10, v97
	v_add_nc_u32_e32 v103, 22, v19
	v_mul_lo_u32 v90, s10, v90
	v_add_nc_u32_e32 v104, 21, v19
	v_add_nc_u32_e32 v105, 20, v19
	;; [unrolled: 1-line block ×3, first 2 shown]
	v_mul_lo_u32 v103, s10, v103
	v_ashrrev_i32_e32 v143, 31, v89
	v_add_co_u32 v145, vcc_lo, v31, v89
	v_add_nc_u32_e32 v102, s10, v100
	v_mul_lo_u32 v104, s10, v104
	v_ashrrev_i32_e32 v92, 31, v90
	v_add_co_ci_u32_e64 v146, null, v30, v143, vcc_lo
	v_add_co_u32 v147, vcc_lo, v84, v89
	v_add_nc_u32_e32 v106, 19, v19
	v_add_co_ci_u32_e64 v143, null, v85, v143, vcc_lo
	v_add_co_u32 v148, vcc_lo, v31, v90
	v_mul_lo_u32 v105, s10, v105
	v_ashrrev_i32_e32 v109, 31, v103
	v_add_nc_u32_e32 v107, s10, v102
	v_add_co_ci_u32_e64 v149, null, v30, v92, vcc_lo
	v_add_co_u32 v150, vcc_lo, v84, v90
	v_add_co_ci_u32_e64 v151, null, v85, v92, vcc_lo
	v_add_co_u32 v152, vcc_lo, v31, v103
	v_mul_lo_u32 v106, s10, v106
	v_ashrrev_i32_e32 v110, 31, v104
	v_add_co_ci_u32_e64 v153, null, v30, v109, vcc_lo
	v_add_co_u32 v154, vcc_lo, v84, v103
	v_add_nc_u32_e32 v108, s10, v107
	v_add_co_ci_u32_e64 v155, null, v85, v109, vcc_lo
	v_add_co_u32 v156, vcc_lo, v31, v104
	v_ashrrev_i32_e32 v111, 31, v105
	v_add_co_ci_u32_e64 v157, null, v30, v110, vcc_lo
	v_add_co_u32 v158, vcc_lo, v84, v104
	v_add_nc_u32_e32 v101, s10, v108
	v_add_co_ci_u32_e64 v159, null, v85, v110, vcc_lo
	v_add_co_u32 v160, vcc_lo, v31, v105
	v_ashrrev_i32_e32 v112, 31, v106
	v_add_co_ci_u32_e64 v161, null, v30, v111, vcc_lo
	v_add_co_u32 v162, vcc_lo, v84, v105
	v_add_co_ci_u32_e64 v163, null, v85, v111, vcc_lo
	v_add_co_u32 v164, vcc_lo, v31, v106
	v_ashrrev_i32_e32 v113, 31, v101
	v_add_co_ci_u32_e64 v165, null, v30, v112, vcc_lo
	v_add_co_u32 v166, vcc_lo, v84, v106
	;; [unrolled: 5-line block ×17, first 2 shown]
	v_add_co_ci_u32_e64 v227, null, v85, v144, vcc_lo
	v_add_co_u32 v228, vcc_lo, v31, v86
	v_ashrrev_i32_e32 v90, 31, v83
	v_and_b32_e32 v87, 30, v78
	v_add_co_ci_u32_e64 v229, null, v30, v89, vcc_lo
	v_add_co_u32 v230, vcc_lo, v84, v86
	v_add_co_ci_u32_e64 v231, null, v85, v89, vcc_lo
	v_add_co_u32 v232, vcc_lo, v31, v83
	v_ashrrev_i32_e32 v92, 31, v21
	v_add_co_ci_u32_e64 v233, null, v30, v90, vcc_lo
	v_add_co_u32 v234, vcc_lo, v84, v83
	v_add_nc_u32_e32 v86, 2, v87
	v_xor_b32_e32 v87, 1, v78
	v_add_co_ci_u32_e64 v235, null, v85, v90, vcc_lo
	v_add_co_u32 v31, vcc_lo, v31, v21
	v_add_co_ci_u32_e64 v30, null, v30, v92, vcc_lo
	v_add_co_u32 v236, vcc_lo, v84, v21
	v_add_co_ci_u32_e64 v237, null, v85, v92, vcc_lo
	v_cmp_lt_i32_e32 vcc_lo, v87, v86
	v_xor_b32_e32 v84, 2, v78
	v_xor_b32_e32 v85, 4, v78
	;; [unrolled: 1-line block ×3, first 2 shown]
	s_mul_i32 s50, s8, s33
	v_cndmask_b32_e32 v21, v78, v87, vcc_lo
	v_cmp_gt_i32_e32 vcc_lo, 32, v84
	v_xor_b32_e32 v87, 16, v78
	s_mov_b32 s5, s3
	v_add_co_u32 v18, s3, s50, v18
	v_lshlrev_b32_e32 v83, 2, v21
	v_mul_lo_u32 v21, v20, s12
	v_cndmask_b32_e32 v84, v78, v84, vcc_lo
	v_cmp_gt_i32_e32 vcc_lo, 32, v85
	v_add_co_ci_u32_e64 v95, null, s40, 0, s3
	s_lshl_b64 s[8:9], s[4:5], 1
	v_lshlrev_b32_e32 v20, 1, v20
	v_cndmask_b32_e32 v85, v78, v85, vcc_lo
	v_cmp_gt_i32_e32 vcc_lo, 32, v86
	v_add_nc_u32_e32 v93, s12, v21
	s_add_u32 s3, s48, s22
	s_addc_u32 s5, s45, s23
	v_lshlrev_b32_e32 v88, 1, v19
	v_cndmask_b32_e32 v86, v78, v86, vcc_lo
	v_cmp_gt_i32_e32 vcc_lo, 32, v87
	v_ashrrev_i32_e32 v94, 31, v93
	s_add_u32 s3, s18, s3
	s_addc_u32 s5, s19, s5
	v_add_co_u32 v20, s3, s3, v20
	v_cndmask_b32_e32 v87, v78, v87, vcc_lo
	v_add_co_u32 v19, vcc_lo, v18, v93
	v_add_co_ci_u32_e64 v90, null, v95, v94, vcc_lo
	v_add_co_ci_u32_e64 v92, null, s5, 0, s3
	v_add_co_u32 v89, vcc_lo, s49, v19
	v_add_co_ci_u32_e64 v90, null, s42, v90, vcc_lo
	v_add_co_u32 v91, vcc_lo, v20, 2
	v_add_co_ci_u32_e64 v92, null, 0, v92, vcc_lo
	;; [unrolled: 2-line block ×3, first 2 shown]
	v_ashrrev_i32_e32 v20, 31, v21
	v_add_co_u32 v18, vcc_lo, v18, v21
	s_add_u32 s3, s49, s50
	s_addc_u32 s5, s42, s40
	v_add_co_ci_u32_e64 v19, null, v19, v20, vcc_lo
	v_add_co_u32 v93, vcc_lo, s3, v93
	v_add_co_ci_u32_e64 v94, null, s5, v94, vcc_lo
	v_add_co_u32 v95, vcc_lo, s14, v18
	v_add_co_ci_u32_e64 v96, null, s15, v19, vcc_lo
	v_add_co_u32 v97, vcc_lo, v24, 2
	s_add_u32 s3, s16, s46
	v_add_co_ci_u32_e64 v98, null, 0, v25, vcc_lo
	s_addc_u32 s5, s17, s47
	v_add_co_u32 v18, vcc_lo, s3, v26
	v_add_co_ci_u32_e64 v19, null, s5, v27, vcc_lo
	v_add_co_u32 v99, vcc_lo, s3, v22
	s_add_u32 s3, s50, s43
	v_add_co_ci_u32_e64 v100, null, s5, v23, vcc_lo
	s_addc_u32 s5, s40, s44
	v_add_co_u32 v101, vcc_lo, v18, 2
	s_add_u32 s3, s14, s3
	v_add_co_ci_u32_e64 v102, null, 0, v19, vcc_lo
	s_addc_u32 s5, s15, s5
	v_add_co_u32 v18, vcc_lo, s3, v21
	v_add_co_ci_u32_e64 v19, null, s5, v20, vcc_lo
	v_add_co_u32 v20, vcc_lo, s16, v28
	v_add_co_ci_u32_e64 v21, null, s17, v29, vcc_lo
	;; [unrolled: 2-line block ×91, first 2 shown]
	ds_read_b128 v[18:21], v76
	v_add_co_u32 v22, vcc_lo, s16, v31
	v_add_co_ci_u32_e64 v23, null, s17, v30, vcc_lo
	v_add_co_u32 v223, vcc_lo, s16, v234
	v_add_co_ci_u32_e64 v224, null, s17, v235, vcc_lo
	;; [unrolled: 2-line block ×3, first 2 shown]
	v_add_co_u32 v227, vcc_lo, s16, v236
	v_lshlrev_b32_e32 v84, 2, v84
	v_lshlrev_b32_e32 v85, 2, v85
	;; [unrolled: 1-line block ×4, first 2 shown]
	v_add_co_ci_u32_e64 v228, null, s17, v237, vcc_lo
	v_mov_b32_e32 v82, 0
	v_and_b32_e32 v229, 4, v0
	v_mov_b32_e32 v23, 0xfeffffff
	v_mov_b32_e32 v230, 0x10001
	;; [unrolled: 1-line block ×5, first 2 shown]
	s_mul_i32 s28, s10, s2
	s_mul_i32 s29, s12, s2
	;; [unrolled: 1-line block ×4, first 2 shown]
	s_mov_b32 s10, 0xbbbac73d
.LBB22_17:                              ; =>This Inner Loop Header: Depth=1
	v_add_co_u32 v24, vcc_lo, v95, s29
	v_add_co_ci_u32_e64 v25, null, 0, v96, vcc_lo
	v_add_co_u32 v29, vcc_lo, v103, s29
	v_add_co_ci_u32_e64 v30, null, 0, v104, vcc_lo
	s_clause 0x5
	global_load_dword v31, v[24:25], off offset:2
	global_load_dword v32, v[24:25], off offset:10
	;; [unrolled: 1-line block ×6, first 2 shown]
	s_clause 0x1
	global_load_ushort v26, v[29:30], off offset:-54
	global_load_ushort v27, v[29:30], off offset:-36
	s_clause 0x1
	global_load_dword v237, v[24:25], off offset:56
	global_load_dword v24, v[24:25], off offset:64
	s_clause 0x1
	global_load_ushort v28, v[29:30], off offset:-18
	global_load_ushort v25, v[29:30], off
	v_mov_b32_e32 v29, 0
	v_mov_b32_e32 v30, 0
	;; [unrolled: 1-line block ×16, first 2 shown]
	s_waitcnt vmcnt(11)
	v_and_b32_e32 v236, 0xf0f0f0f, v31
	s_waitcnt vmcnt(10)
	v_and_b32_e32 v234, 0xf0f0f0f, v32
	v_lshrrev_b32_e32 v31, 4, v31
	v_lshrrev_b32_e32 v32, 4, v32
	s_waitcnt vmcnt(9)
	v_and_b32_e32 v71, 0xf0f0f0f, v33
	v_dot4c_i32_i8 v29, v236, v38
	v_dot4c_i32_i8 v30, v234, v39
	v_and_b32_e32 v235, 0xf0f0f0f, v31
	v_and_b32_e32 v233, 0xf0f0f0f, v32
	s_waitcnt vmcnt(8)
	v_and_b32_e32 v37, 0xf0f0f0f, v34
	v_cvt_f32_i32_e32 v29, v29
	v_cvt_f32_i32_e32 v30, v30
	v_dot4c_i32_i8 v70, v235, v40
	v_dot4c_i32_i8 v232, v233, v41
	v_lshrrev_b32_e32 v250, 4, v33
	v_fma_f32 v29, v2, v29, -v3
	v_fma_f32 v30, v2, v30, -v3
	v_cvt_f32_i32_e32 v32, v70
	v_dot4c_i32_i8 v238, v71, v42
	v_cvt_f32_i32_e32 v70, v232
	s_waitcnt vmcnt(5)
	v_fma_mix_f32 v29, v29, v26, 0 op_sel_hi:[0,1,0]
	v_lshrrev_b32_e32 v34, 4, v34
	v_fma_f32 v32, v2, v32, -v3
	v_and_b32_e32 v232, 0xf0f0f0f, v250
	v_dot4c_i32_i8 v239, v37, v43
	v_fma_mix_f32 v29, v30, v26, v29 op_sel_hi:[0,1,0]
	v_cvt_f32_i32_e32 v30, v238
	v_fma_f32 v238, v2, v70, -v3
	v_and_b32_e32 v70, 0xf0f0f0f, v34
	v_dot4c_i32_i8 v240, v232, v44
	v_fma_mix_f32 v29, v32, v26, v29 op_sel_hi:[0,1,0]
	v_cvt_f32_i32_e32 v32, v239
	v_fma_f32 v30, v4, v30, -v5
	v_and_b32_e32 v33, 0xf0f0f0f, v35
	v_and_b32_e32 v31, 0xf0f0f0f, v36
	v_fma_mix_f32 v29, v238, v26, v29 op_sel_hi:[0,1,0]
	v_lshrrev_b32_e32 v34, 4, v36
	v_dot4c_i32_i8 v241, v70, v45
	v_fma_f32 v32, v4, v32, -v5
	v_cvt_f32_i32_e32 v36, v240
	s_waitcnt vmcnt(4)
	v_fma_mix_f32 v30, v30, v27, v29 op_sel_hi:[0,1,0]
	v_lshrrev_b32_e32 v35, 4, v35
	v_dot4c_i32_i8 v242, v33, v46
	v_cvt_f32_i32_e32 v238, v241
	v_fma_f32 v239, v4, v36, -v5
	v_fma_mix_f32 v30, v32, v27, v30 op_sel_hi:[0,1,0]
	v_and_b32_e32 v36, 0xf0f0f0f, v35
	v_dot4c_i32_i8 v243, v31, v47
	v_cvt_f32_i32_e32 v32, v242
	v_fma_f32 v238, v4, v238, -v5
	v_fma_mix_f32 v30, v239, v27, v30 op_sel_hi:[0,1,0]
	v_and_b32_e32 v35, 0xf0f0f0f, v34
	v_cvt_f32_i32_e32 v34, v243
	v_dot4c_i32_i8 v244, v36, v48
	v_fma_f32 v239, v6, v32, -v7
	v_fma_mix_f32 v30, v238, v27, v30 op_sel_hi:[0,1,0]
	s_waitcnt vmcnt(3)
	v_and_b32_e32 v29, 0xf0f0f0f, v237
	v_dot4c_i32_i8 v245, v35, v49
	v_fma_f32 v34, v6, v34, -v7
	v_cvt_f32_i32_e32 v238, v244
	s_waitcnt vmcnt(1)
	v_fma_mix_f32 v30, v239, v28, v30 op_sel_hi:[0,1,0]
	v_and_b32_e32 v32, 0xf0f0f0f, v24
	v_lshrrev_b32_e32 v237, 4, v237
	v_dot4c_i32_i8 v246, v29, v50
	v_cvt_f32_i32_e32 v239, v245
	v_fma_f32 v238, v6, v238, -v7
	v_fma_mix_f32 v30, v34, v28, v30 op_sel_hi:[0,1,0]
	v_lshrrev_b32_e32 v24, 4, v24
	v_dot4c_i32_i8 v247, v32, v51
	v_cvt_f32_i32_e32 v240, v246
	v_fma_f32 v239, v6, v239, -v7
	v_fma_mix_f32 v238, v238, v28, v30 op_sel_hi:[0,1,0]
	v_and_b32_e32 v34, 0xf0f0f0f, v237
	v_and_b32_e32 v30, 0xf0f0f0f, v24
	v_cvt_f32_i32_e32 v24, v247
	v_fma_f32 v237, v8, v240, -v9
	v_fma_mix_f32 v238, v239, v28, v238 op_sel_hi:[0,1,0]
	v_dot4c_i32_i8 v248, v34, v52
	v_dot4c_i32_i8 v249, v30, v53
	v_fma_f32 v24, v8, v24, -v9
	s_waitcnt vmcnt(0)
	v_fma_mix_f32 v237, v237, v25, v238 op_sel_hi:[0,1,0]
	v_cvt_f32_i32_e32 v238, v248
	v_cvt_f32_i32_e32 v239, v249
	v_fma_mix_f32 v24, v24, v25, v237 op_sel_hi:[0,1,0]
	v_fma_f32 v237, v8, v238, -v9
	v_fma_f32 v238, v8, v239, -v9
	v_fma_mix_f32 v24, v237, v25, v24 op_sel_hi:[0,1,0]
	v_fma_mix_f32 v24, v238, v25, v24 op_sel_hi:[0,1,0]
	ds_bpermute_b32 v237, v83, v24
	s_waitcnt lgkmcnt(0)
	v_add_f32_e32 v24, v24, v237
                                        ; implicit-def: $vgpr237
	v_cmp_ngt_f32_e64 s12, 0x3f200000, |v24|
	s_and_saveexec_b32 s14, s12
	s_xor_b32 s12, exec_lo, s14
	s_cbranch_execz .LBB22_19
; %bb.18:                               ;   in Loop: Header=BB22_17 Depth=1
	v_add_f32_e64 v237, |v24|, |v24|
	v_mul_f32_e32 v238, 0x3fb8aa3b, v237
	v_cmp_ngt_f32_e32 vcc_lo, 0xc2ce8ed0, v237
	v_rndne_f32_e32 v239, v238
	v_fma_f32 v240, 0x3fb8aa3b, v237, -v238
	v_sub_f32_e32 v238, v238, v239
	v_fmac_f32_e32 v240, 0x32a5705f, v237
	v_cvt_i32_f32_e32 v239, v239
	v_add_f32_e32 v238, v238, v240
	v_exp_f32_e32 v238, v238
	v_ldexp_f32 v238, v238, v239
	v_cndmask_b32_e32 v238, 0, v238, vcc_lo
	v_cmp_nlt_f32_e32 vcc_lo, 0x42b17218, v237
	v_cndmask_b32_e32 v237, 0x7f800000, v238, vcc_lo
	v_add_f32_e32 v237, 1.0, v237
	v_rcp_f32_e32 v237, v237
	v_fma_f32 v237, v237, -2.0, 1.0
.LBB22_19:                              ;   in Loop: Header=BB22_17 Depth=1
	s_andn2_saveexec_b32 s12, s12
	s_cbranch_execz .LBB22_21
; %bb.20:                               ;   in Loop: Header=BB22_17 Depth=1
	v_mul_f32_e32 v237, v24, v24
	v_fmaak_f32 v238, s10, v237, 0x3ca908c9
	v_fmaak_f32 v238, v237, v238, 0xbd5c1c4e
	;; [unrolled: 1-line block ×4, first 2 shown]
	v_mul_f32_e64 v238, |v24|, v238
	v_fma_f32 v237, v237, v238, |v24|
.LBB22_21:                              ;   in Loop: Header=BB22_17 Depth=1
	s_or_b32 exec_lo, exec_lo, s12
	v_bfi_b32 v24, 0x7fffffff, v237, v24
	s_andn2_b32 vcc_lo, exec_lo, s35
	v_mul_f32_e32 v24, s41, v24
	s_cbranch_vccnz .LBB22_23
; %bb.22:                               ;   in Loop: Header=BB22_17 Depth=1
	v_add_co_u32 v237, vcc_lo, v91, s11
	v_add_co_ci_u32_e64 v238, null, s13, v92, vcc_lo
	global_load_ushort v237, v[237:238], off offset:-2
	s_waitcnt vmcnt(0)
	v_fma_mix_f32 v24, v77, v237, v24 op_sel_hi:[0,1,0]
.LBB22_23:                              ;   in Loop: Header=BB22_17 Depth=1
	v_mov_b32_e32 v237, 0
	v_mov_b32_e32 v238, 0
	v_cvt_f32_f16_e32 v26, v26
	v_cvt_f32_f16_e32 v27, v27
	v_cvt_f32_f16_e32 v28, v28
	v_dot4c_i32_i8 v237, v236, v54
	v_mov_b32_e32 v236, 0
	v_dot4c_i32_i8 v238, v234, v55
	v_cvt_f32_f16_e32 v25, v25
	v_cvt_f32_i32_e32 v234, v237
	v_mov_b32_e32 v237, 0
	v_dot4c_i32_i8 v236, v235, v56
	v_cvt_f32_i32_e32 v235, v238
	v_mov_b32_e32 v238, 0
	v_fma_f32 v234, v10, v234, -v11
	v_dot4c_i32_i8 v237, v233, v57
	v_cvt_f32_i32_e32 v233, v236
	v_fma_f32 v235, v10, v235, -v11
	v_mov_b32_e32 v236, 0
	v_fma_f32 v234, v234, v26, 0
	v_dot4c_i32_i8 v238, v71, v58
	v_cvt_f32_i32_e32 v71, v237
	v_fma_f32 v233, v10, v233, -v11
	v_dot4c_i32_i8 v236, v37, v59
	v_fmac_f32_e32 v234, v235, v26
	v_mov_b32_e32 v235, 0
	v_cvt_f32_i32_e32 v37, v238
	v_fma_f32 v71, v10, v71, -v11
	v_fmac_f32_e32 v234, v233, v26
	v_mov_b32_e32 v233, 0
	v_dot4c_i32_i8 v235, v232, v60
	v_cvt_f32_i32_e32 v232, v236
	v_fma_f32 v37, v12, v37, -v13
	v_fmac_f32_e32 v234, v71, v26
	v_mov_b32_e32 v26, 0
	v_dot4c_i32_i8 v233, v70, v61
	;; [unrolled: 5-line block ×8, first 2 shown]
	v_cvt_f32_i32_e32 v27, v27
	v_fma_f32 v29, v14, v29, -v15
	v_fmac_f32_e32 v234, v31, v28
	v_dot4c_i32_i8 v33, v34, v68
	v_cvt_f32_i32_e32 v26, v26
	v_fma_f32 v27, v16, v27, -v17
	v_fmac_f32_e32 v234, v29, v28
	v_mov_b32_e32 v28, 0
	v_cvt_f32_i32_e32 v29, v33
	v_fma_f32 v26, v16, v26, -v17
	v_fmac_f32_e32 v234, v27, v25
	v_dot4c_i32_i8 v28, v30, v69
	v_fma_f32 v27, v16, v29, -v17
	v_fmac_f32_e32 v234, v26, v25
	v_cvt_f32_i32_e32 v26, v28
	v_fmac_f32_e32 v234, v27, v25
	v_fma_f32 v26, v16, v26, -v17
	v_fmac_f32_e32 v234, v26, v25
                                        ; implicit-def: $vgpr26
	ds_bpermute_b32 v25, v83, v234
	s_waitcnt lgkmcnt(0)
	v_add_f32_e32 v25, v234, v25
	v_cmp_ngt_f32_e64 s12, 0x3f200000, |v25|
	s_and_saveexec_b32 s14, s12
	s_xor_b32 s12, exec_lo, s14
	s_cbranch_execz .LBB22_25
; %bb.24:                               ;   in Loop: Header=BB22_17 Depth=1
	v_add_f32_e64 v26, |v25|, |v25|
	v_mul_f32_e32 v27, 0x3fb8aa3b, v26
	v_cmp_ngt_f32_e32 vcc_lo, 0xc2ce8ed0, v26
	v_rndne_f32_e32 v28, v27
	v_fma_f32 v29, 0x3fb8aa3b, v26, -v27
	v_sub_f32_e32 v27, v27, v28
	v_fmac_f32_e32 v29, 0x32a5705f, v26
	v_cvt_i32_f32_e32 v28, v28
	v_add_f32_e32 v27, v27, v29
	v_exp_f32_e32 v27, v27
	v_ldexp_f32 v27, v27, v28
	v_cndmask_b32_e32 v27, 0, v27, vcc_lo
	v_cmp_nlt_f32_e32 vcc_lo, 0x42b17218, v26
	v_cndmask_b32_e32 v26, 0x7f800000, v27, vcc_lo
	v_add_f32_e32 v26, 1.0, v26
	v_rcp_f32_e32 v26, v26
	v_fma_f32 v26, v26, -2.0, 1.0
.LBB22_25:                              ;   in Loop: Header=BB22_17 Depth=1
	s_andn2_saveexec_b32 s12, s12
	s_cbranch_execz .LBB22_27
; %bb.26:                               ;   in Loop: Header=BB22_17 Depth=1
	v_mul_f32_e32 v26, v25, v25
	v_fmaak_f32 v27, s10, v26, 0x3ca908c9
	v_fmaak_f32 v27, v26, v27, 0xbd5c1c4e
	;; [unrolled: 1-line block ×4, first 2 shown]
	v_mul_f32_e64 v27, |v25|, v27
	v_fma_f32 v26, v26, v27, |v25|
.LBB22_27:                              ;   in Loop: Header=BB22_17 Depth=1
	s_or_b32 exec_lo, exec_lo, s12
	v_bfi_b32 v25, 0x7fffffff, v26, v25
	s_andn2_b32 vcc_lo, exec_lo, s39
	v_mul_f32_e32 v25, s41, v25
	s_cbranch_vccnz .LBB22_29
; %bb.28:                               ;   in Loop: Header=BB22_17 Depth=1
	v_add_co_u32 v26, vcc_lo, v79, s11
	v_add_co_ci_u32_e64 v27, null, s13, v80, vcc_lo
	global_load_ushort v26, v[26:27], off
	s_waitcnt vmcnt(0)
	v_fma_mix_f32 v25, v77, v26, v25 op_sel_hi:[0,1,0]
.LBB22_29:                              ;   in Loop: Header=BB22_17 Depth=1
	v_add_co_u32 v29, vcc_lo, v89, s29
	v_add_co_ci_u32_e64 v30, null, 0, v90, vcc_lo
	v_add_co_u32 v31, vcc_lo, v93, s29
	v_add_co_ci_u32_e64 v32, null, 0, v94, vcc_lo
	s_clause 0x5
	global_load_dword v33, v[29:30], off offset:2
	global_load_dword v34, v[29:30], off offset:10
	;; [unrolled: 1-line block ×6, first 2 shown]
	s_clause 0x1
	global_load_ushort v27, v[31:32], off
	global_load_ushort v28, v[31:32], off offset:18
	s_clause 0x1
	global_load_dword v239, v[29:30], off offset:56
	global_load_dword v30, v[29:30], off offset:64
	s_clause 0x1
	global_load_ushort v29, v[31:32], off offset:36
	global_load_ushort v26, v[31:32], off offset:54
	v_mov_b32_e32 v31, 0
	v_mov_b32_e32 v32, 0
	;; [unrolled: 1-line block ×16, first 2 shown]
	s_waitcnt vmcnt(11)
	v_and_b32_e32 v238, 0xf0f0f0f, v33
	s_waitcnt vmcnt(10)
	v_and_b32_e32 v236, 0xf0f0f0f, v34
	v_lshrrev_b32_e32 v33, 4, v33
	v_lshrrev_b32_e32 v34, 4, v34
	s_waitcnt vmcnt(9)
	v_and_b32_e32 v233, 0xf0f0f0f, v35
	v_dot4c_i32_i8 v31, v238, v38
	v_dot4c_i32_i8 v32, v236, v39
	v_and_b32_e32 v237, 0xf0f0f0f, v33
	v_and_b32_e32 v235, 0xf0f0f0f, v34
	s_waitcnt vmcnt(8)
	v_and_b32_e32 v71, 0xf0f0f0f, v36
	v_cvt_f32_i32_e32 v31, v31
	v_cvt_f32_i32_e32 v32, v32
	v_dot4c_i32_i8 v232, v237, v40
	v_dot4c_i32_i8 v234, v235, v41
	v_lshrrev_b32_e32 v252, 4, v35
	v_fma_f32 v31, v2, v31, -v3
	v_fma_f32 v32, v2, v32, -v3
	v_cvt_f32_i32_e32 v34, v232
	v_dot4c_i32_i8 v240, v233, v42
	v_cvt_f32_i32_e32 v232, v234
	s_waitcnt vmcnt(5)
	v_fma_mix_f32 v31, v31, v27, 0 op_sel_hi:[0,1,0]
	v_lshrrev_b32_e32 v36, 4, v36
	v_fma_f32 v34, v2, v34, -v3
	v_and_b32_e32 v234, 0xf0f0f0f, v252
	v_dot4c_i32_i8 v241, v71, v43
	v_fma_mix_f32 v31, v32, v27, v31 op_sel_hi:[0,1,0]
	v_cvt_f32_i32_e32 v32, v240
	v_fma_f32 v240, v2, v232, -v3
	v_and_b32_e32 v232, 0xf0f0f0f, v36
	v_dot4c_i32_i8 v242, v234, v44
	v_fma_mix_f32 v31, v34, v27, v31 op_sel_hi:[0,1,0]
	v_cvt_f32_i32_e32 v34, v241
	v_fma_f32 v32, v4, v32, -v5
	v_and_b32_e32 v35, 0xf0f0f0f, v37
	v_and_b32_e32 v33, 0xf0f0f0f, v70
	v_fma_mix_f32 v31, v240, v27, v31 op_sel_hi:[0,1,0]
	v_lshrrev_b32_e32 v36, 4, v70
	v_dot4c_i32_i8 v243, v232, v45
	v_fma_f32 v34, v4, v34, -v5
	v_cvt_f32_i32_e32 v70, v242
	s_waitcnt vmcnt(4)
	v_fma_mix_f32 v32, v32, v28, v31 op_sel_hi:[0,1,0]
	v_lshrrev_b32_e32 v37, 4, v37
	v_dot4c_i32_i8 v244, v35, v46
	v_cvt_f32_i32_e32 v240, v243
	v_fma_f32 v241, v4, v70, -v5
	v_fma_mix_f32 v32, v34, v28, v32 op_sel_hi:[0,1,0]
	v_and_b32_e32 v70, 0xf0f0f0f, v37
	v_dot4c_i32_i8 v245, v33, v47
	v_cvt_f32_i32_e32 v34, v244
	v_fma_f32 v240, v4, v240, -v5
	v_fma_mix_f32 v32, v241, v28, v32 op_sel_hi:[0,1,0]
	v_and_b32_e32 v37, 0xf0f0f0f, v36
	v_cvt_f32_i32_e32 v36, v245
	v_dot4c_i32_i8 v246, v70, v48
	v_fma_f32 v241, v6, v34, -v7
	v_fma_mix_f32 v32, v240, v28, v32 op_sel_hi:[0,1,0]
	s_waitcnt vmcnt(3)
	v_and_b32_e32 v31, 0xf0f0f0f, v239
	v_dot4c_i32_i8 v247, v37, v49
	v_fma_f32 v36, v6, v36, -v7
	v_cvt_f32_i32_e32 v240, v246
	s_waitcnt vmcnt(1)
	v_fma_mix_f32 v32, v241, v29, v32 op_sel_hi:[0,1,0]
	v_and_b32_e32 v34, 0xf0f0f0f, v30
	v_lshrrev_b32_e32 v239, 4, v239
	v_dot4c_i32_i8 v248, v31, v50
	v_cvt_f32_i32_e32 v241, v247
	v_fma_f32 v240, v6, v240, -v7
	v_fma_mix_f32 v32, v36, v29, v32 op_sel_hi:[0,1,0]
	v_lshrrev_b32_e32 v30, 4, v30
	v_dot4c_i32_i8 v249, v34, v51
	v_cvt_f32_i32_e32 v242, v248
	v_fma_f32 v241, v6, v241, -v7
	v_fma_mix_f32 v240, v240, v29, v32 op_sel_hi:[0,1,0]
	v_and_b32_e32 v36, 0xf0f0f0f, v239
	v_and_b32_e32 v32, 0xf0f0f0f, v30
	v_cvt_f32_i32_e32 v30, v249
	v_fma_f32 v239, v8, v242, -v9
	v_fma_mix_f32 v240, v241, v29, v240 op_sel_hi:[0,1,0]
	v_dot4c_i32_i8 v250, v36, v52
	v_dot4c_i32_i8 v251, v32, v53
	v_fma_f32 v30, v8, v30, -v9
	s_waitcnt vmcnt(0)
	v_fma_mix_f32 v239, v239, v26, v240 op_sel_hi:[0,1,0]
	v_cvt_f32_i32_e32 v240, v250
	v_cvt_f32_i32_e32 v241, v251
	v_fma_mix_f32 v30, v30, v26, v239 op_sel_hi:[0,1,0]
	v_fma_f32 v239, v8, v240, -v9
	v_fma_f32 v240, v8, v241, -v9
	v_fma_mix_f32 v30, v239, v26, v30 op_sel_hi:[0,1,0]
	v_fma_mix_f32 v30, v240, v26, v30 op_sel_hi:[0,1,0]
	ds_bpermute_b32 v239, v83, v30
	s_waitcnt lgkmcnt(0)
	v_add_f32_e32 v30, v30, v239
                                        ; implicit-def: $vgpr239
	v_cmp_ngt_f32_e64 s12, 0x3f200000, |v30|
	s_and_saveexec_b32 s14, s12
	s_xor_b32 s12, exec_lo, s14
	s_cbranch_execz .LBB22_31
; %bb.30:                               ;   in Loop: Header=BB22_17 Depth=1
	v_add_f32_e64 v239, |v30|, |v30|
	v_mul_f32_e32 v240, 0x3fb8aa3b, v239
	v_cmp_ngt_f32_e32 vcc_lo, 0xc2ce8ed0, v239
	v_rndne_f32_e32 v241, v240
	v_fma_f32 v242, 0x3fb8aa3b, v239, -v240
	v_sub_f32_e32 v240, v240, v241
	v_fmac_f32_e32 v242, 0x32a5705f, v239
	v_cvt_i32_f32_e32 v241, v241
	v_add_f32_e32 v240, v240, v242
	v_exp_f32_e32 v240, v240
	v_ldexp_f32 v240, v240, v241
	v_cndmask_b32_e32 v240, 0, v240, vcc_lo
	v_cmp_nlt_f32_e32 vcc_lo, 0x42b17218, v239
	v_cndmask_b32_e32 v239, 0x7f800000, v240, vcc_lo
	v_add_f32_e32 v239, 1.0, v239
	v_rcp_f32_e32 v239, v239
	v_fma_f32 v239, v239, -2.0, 1.0
.LBB22_31:                              ;   in Loop: Header=BB22_17 Depth=1
	s_andn2_saveexec_b32 s12, s12
	s_cbranch_execz .LBB22_33
; %bb.32:                               ;   in Loop: Header=BB22_17 Depth=1
	v_mul_f32_e32 v239, v30, v30
	v_fmaak_f32 v240, s10, v239, 0x3ca908c9
	v_fmaak_f32 v240, v239, v240, 0xbd5c1c4e
	;; [unrolled: 1-line block ×4, first 2 shown]
	v_mul_f32_e64 v240, |v30|, v240
	v_fma_f32 v239, v239, v240, |v30|
.LBB22_33:                              ;   in Loop: Header=BB22_17 Depth=1
	s_or_b32 exec_lo, exec_lo, s12
	v_bfi_b32 v30, 0x7fffffff, v239, v30
	s_andn2_b32 vcc_lo, exec_lo, s35
	v_mul_f32_e32 v30, s41, v30
	s_cbranch_vccnz .LBB22_35
; %bb.34:                               ;   in Loop: Header=BB22_17 Depth=1
	v_add_co_u32 v239, vcc_lo, v91, s11
	v_add_co_ci_u32_e64 v240, null, s13, v92, vcc_lo
	global_load_ushort v239, v[239:240], off
	s_waitcnt vmcnt(0)
	v_fma_mix_f32 v30, v77, v239, v30 op_sel_hi:[0,1,0]
.LBB22_35:                              ;   in Loop: Header=BB22_17 Depth=1
	v_mov_b32_e32 v239, 0
	v_mov_b32_e32 v240, 0
	v_cvt_f32_f16_e32 v27, v27
	v_cvt_f32_f16_e32 v28, v28
	;; [unrolled: 1-line block ×3, first 2 shown]
	v_dot4c_i32_i8 v239, v238, v54
	v_mov_b32_e32 v238, 0
	v_dot4c_i32_i8 v240, v236, v55
	v_cvt_f32_f16_e32 v26, v26
	v_cvt_f32_i32_e32 v236, v239
	v_mov_b32_e32 v239, 0
	v_dot4c_i32_i8 v238, v237, v56
	v_cvt_f32_i32_e32 v237, v240
	v_mov_b32_e32 v240, 0
	v_fma_f32 v236, v10, v236, -v11
	v_dot4c_i32_i8 v239, v235, v57
	v_cvt_f32_i32_e32 v235, v238
	v_fma_f32 v237, v10, v237, -v11
	v_mov_b32_e32 v238, 0
	v_fma_f32 v236, v236, v27, 0
	v_dot4c_i32_i8 v240, v233, v58
	v_cvt_f32_i32_e32 v233, v239
	v_fma_f32 v235, v10, v235, -v11
	v_dot4c_i32_i8 v238, v71, v59
	v_fmac_f32_e32 v236, v237, v27
	v_mov_b32_e32 v237, 0
	v_cvt_f32_i32_e32 v71, v240
	v_fma_f32 v233, v10, v233, -v11
	v_fmac_f32_e32 v236, v235, v27
	v_mov_b32_e32 v235, 0
	v_dot4c_i32_i8 v237, v234, v60
	v_cvt_f32_i32_e32 v234, v238
	v_fma_f32 v71, v12, v71, -v13
	v_fmac_f32_e32 v236, v233, v27
	v_mov_b32_e32 v27, 0
	v_dot4c_i32_i8 v235, v232, v61
	;; [unrolled: 5-line block ×8, first 2 shown]
	v_cvt_f32_i32_e32 v28, v28
	v_fma_f32 v31, v14, v31, -v15
	v_fmac_f32_e32 v236, v33, v29
	v_dot4c_i32_i8 v35, v36, v68
	v_cvt_f32_i32_e32 v27, v27
	v_fma_f32 v28, v16, v28, -v17
	v_fmac_f32_e32 v236, v31, v29
	v_mov_b32_e32 v29, 0
	v_cvt_f32_i32_e32 v31, v35
	v_fma_f32 v27, v16, v27, -v17
	v_fmac_f32_e32 v236, v28, v26
	v_dot4c_i32_i8 v29, v32, v69
	v_fma_f32 v28, v16, v31, -v17
	v_fmac_f32_e32 v236, v27, v26
	v_cvt_f32_i32_e32 v27, v29
	v_fmac_f32_e32 v236, v28, v26
	v_fma_f32 v27, v16, v27, -v17
	v_fmac_f32_e32 v236, v27, v26
                                        ; implicit-def: $vgpr27
	ds_bpermute_b32 v26, v83, v236
	s_waitcnt lgkmcnt(0)
	v_add_f32_e32 v26, v236, v26
	v_cmp_ngt_f32_e64 s12, 0x3f200000, |v26|
	s_and_saveexec_b32 s14, s12
	s_xor_b32 s12, exec_lo, s14
	s_cbranch_execz .LBB22_37
; %bb.36:                               ;   in Loop: Header=BB22_17 Depth=1
	v_add_f32_e64 v27, |v26|, |v26|
	v_mul_f32_e32 v28, 0x3fb8aa3b, v27
	v_cmp_ngt_f32_e32 vcc_lo, 0xc2ce8ed0, v27
	v_rndne_f32_e32 v29, v28
	v_fma_f32 v31, 0x3fb8aa3b, v27, -v28
	v_sub_f32_e32 v28, v28, v29
	v_fmac_f32_e32 v31, 0x32a5705f, v27
	v_cvt_i32_f32_e32 v29, v29
	v_add_f32_e32 v28, v28, v31
	v_exp_f32_e32 v28, v28
	v_ldexp_f32 v28, v28, v29
	v_cndmask_b32_e32 v28, 0, v28, vcc_lo
	v_cmp_nlt_f32_e32 vcc_lo, 0x42b17218, v27
	v_cndmask_b32_e32 v27, 0x7f800000, v28, vcc_lo
	v_add_f32_e32 v27, 1.0, v27
	v_rcp_f32_e32 v27, v27
	v_fma_f32 v27, v27, -2.0, 1.0
.LBB22_37:                              ;   in Loop: Header=BB22_17 Depth=1
	s_andn2_saveexec_b32 s12, s12
	s_cbranch_execz .LBB22_39
; %bb.38:                               ;   in Loop: Header=BB22_17 Depth=1
	v_mul_f32_e32 v27, v26, v26
	v_fmaak_f32 v28, s10, v27, 0x3ca908c9
	v_fmaak_f32 v28, v27, v28, 0xbd5c1c4e
	;; [unrolled: 1-line block ×4, first 2 shown]
	v_mul_f32_e64 v28, |v26|, v28
	v_fma_f32 v27, v27, v28, |v26|
.LBB22_39:                              ;   in Loop: Header=BB22_17 Depth=1
	s_or_b32 exec_lo, exec_lo, s12
	v_bfi_b32 v26, 0x7fffffff, v27, v26
	s_andn2_b32 vcc_lo, exec_lo, s39
	v_mul_f32_e32 v26, s41, v26
	s_cbranch_vccnz .LBB22_41
; %bb.40:                               ;   in Loop: Header=BB22_17 Depth=1
	v_add_co_u32 v27, vcc_lo, v97, s11
	v_add_co_ci_u32_e64 v28, null, s13, v98, vcc_lo
	global_load_ushort v27, v[27:28], off
	s_waitcnt vmcnt(0)
	v_fma_mix_f32 v26, v77, v27, v26 op_sel_hi:[0,1,0]
.LBB22_41:                              ;   in Loop: Header=BB22_17 Depth=1
	v_cndmask_b32_e64 v27, v231, v24, s1
	v_add_f32_e32 v24, 0x40051340, v24
	v_add_f32_e32 v28, 0x40051340, v30
	;; [unrolled: 1-line block ×3, first 2 shown]
	s_add_i32 s2, s2, s4
	s_cmp_ge_i32 s2, s31
	v_max3_f32 v24, v23, v24, v28
	v_add_f32_e32 v28, 0x40051340, v25
	v_cndmask_b32_e64 v25, v26, v25, s1
	v_cndmask_b32_e64 v26, v30, v27, s1
	ds_bpermute_b32 v27, v84, v24
	v_max3_f32 v28, v22, v28, v29
	s_waitcnt lgkmcnt(0)
	v_max_f32_e32 v27, v27, v27
	v_max_f32_e32 v24, v24, v27
	ds_bpermute_b32 v27, v85, v24
	s_waitcnt lgkmcnt(0)
	v_max_f32_e32 v27, v27, v27
	v_max_f32_e32 v24, v24, v27
	ds_bpermute_b32 v27, v86, v24
	;; [unrolled: 4-line block ×3, first 2 shown]
	s_waitcnt lgkmcnt(0)
	v_max_f32_e32 v27, v27, v27
	v_max_f32_e32 v70, v24, v27
	v_sub_f32_e32 v23, v23, v70
	v_mul_f32_e32 v24, 0x3fb8aa3b, v23
	v_cmp_ngt_f32_e32 vcc_lo, 0xc2ce8ed0, v23
	v_fma_f32 v27, 0x3fb8aa3b, v23, -v24
	v_rndne_f32_e32 v29, v24
	v_fmac_f32_e32 v27, 0x32a5705f, v23
	v_sub_f32_e32 v24, v24, v29
	v_add_f32_e32 v24, v24, v27
	v_cvt_i32_f32_e32 v27, v29
	v_exp_f32_e32 v24, v24
	v_ldexp_f32 v24, v24, v27
	v_cndmask_b32_e32 v24, 0, v24, vcc_lo
	v_cmp_nlt_f32_e32 vcc_lo, 0x42b17218, v23
	v_cndmask_b32_e32 v23, 0x7f800000, v24, vcc_lo
	v_sub_f32_e32 v24, v26, v70
	v_mul_f32_e32 v26, 0x3fb8aa3b, v24
	v_cmp_ngt_f32_e32 vcc_lo, 0xc2ce8ed0, v24
	v_fma_f32 v27, 0x3fb8aa3b, v24, -v26
	v_rndne_f32_e32 v29, v26
	v_fmac_f32_e32 v27, 0x32a5705f, v24
	v_sub_f32_e32 v26, v26, v29
	v_add_f32_e32 v26, v26, v27
	v_cvt_i32_f32_e32 v27, v29
	v_exp_f32_e32 v26, v26
	v_ldexp_f32 v26, v26, v27
	v_cndmask_b32_e32 v26, 0, v26, vcc_lo
	v_cmp_nlt_f32_e32 vcc_lo, 0x42b17218, v24
	v_cndmask_b32_e32 v231, 0x7f800000, v26, vcc_lo
	v_fma_f32 v82, v82, v23, v231
	v_cvt_f16_f32_e32 v23, v23
	v_cvt_f16_f32_e32 v24, v231
	v_mul_u32_u24_sdwa v23, v23, v230 dst_sel:DWORD dst_unused:UNUSED_PAD src0_sel:WORD_0 src1_sel:DWORD
	ds_write_b16 v75, v24
	v_pk_mul_f16 v236, v18, v23
	ds_bpermute_b32 v18, v84, v28
	v_pk_mul_f16 v237, v19, v23
	s_waitcnt lgkmcnt(0)
	v_max_f32_e32 v18, v18, v18
	v_max_f32_e32 v18, v28, v18
	ds_bpermute_b32 v19, v85, v18
	s_waitcnt lgkmcnt(0)
	v_max_f32_e32 v19, v19, v19
	v_max_f32_e32 v18, v18, v19
	ds_bpermute_b32 v19, v86, v18
	;; [unrolled: 4-line block ×3, first 2 shown]
	s_waitcnt lgkmcnt(0)
	v_max_f32_e32 v19, v19, v19
	v_max_f32_e32 v71, v18, v19
	v_sub_f32_e32 v18, v22, v71
	v_mul_f32_e32 v19, 0x3fb8aa3b, v18
	v_cmp_ngt_f32_e32 vcc_lo, 0xc2ce8ed0, v18
	v_fma_f32 v22, 0x3fb8aa3b, v18, -v19
	v_rndne_f32_e32 v23, v19
	v_fmac_f32_e32 v22, 0x32a5705f, v18
	v_sub_f32_e32 v19, v19, v23
	v_add_f32_e32 v19, v19, v22
	v_cvt_i32_f32_e32 v22, v23
	v_exp_f32_e32 v19, v19
	v_ldexp_f32 v19, v19, v22
	v_cndmask_b32_e32 v19, 0, v19, vcc_lo
	v_cmp_nlt_f32_e32 vcc_lo, 0x42b17218, v18
	v_cndmask_b32_e32 v18, 0x7f800000, v19, vcc_lo
	v_sub_f32_e32 v19, v25, v71
	v_mul_f32_e32 v22, 0x3fb8aa3b, v19
	v_cmp_ngt_f32_e32 vcc_lo, 0xc2ce8ed0, v19
	v_fma_f32 v23, 0x3fb8aa3b, v19, -v22
	v_rndne_f32_e32 v24, v22
	v_fmac_f32_e32 v23, 0x32a5705f, v19
	v_sub_f32_e32 v22, v22, v24
	v_add_f32_e32 v22, v22, v23
	v_cvt_i32_f32_e32 v23, v24
	v_exp_f32_e32 v22, v22
	v_ldexp_f32 v22, v22, v23
	v_cndmask_b32_e32 v22, 0, v22, vcc_lo
	v_cmp_nlt_f32_e32 vcc_lo, 0x42b17218, v19
	v_cndmask_b32_e32 v19, 0x7f800000, v22, vcc_lo
	v_add_co_u32 v232, vcc_lo, v99, s28
	v_add_co_ci_u32_e64 v233, null, 0, v100, vcc_lo
	v_fma_f32 v81, v81, v18, v19
	v_cvt_f16_f32_e32 v18, v18
	v_add_co_u32 v234, vcc_lo, v101, s28
	v_cvt_f16_f32_e32 v19, v19
	v_add_co_ci_u32_e64 v235, null, 0, v102, vcc_lo
	v_mul_u32_u24_sdwa v18, v18, v230 dst_sel:DWORD dst_unused:UNUSED_PAD src0_sel:WORD_0 src1_sel:DWORD
	ds_write_b16 v75, v19 offset:256
	v_pk_mul_f16 v238, v20, v18
	v_pk_mul_f16 v239, v21, v18
	ds_read_b128 v[30:33], v88
	ds_read_b128 v[26:29], v88 offset:16
	ds_read_b128 v[22:25], v88 offset:32
	;; [unrolled: 1-line block ×3, first 2 shown]
	global_load_dword v234, v[234:235], off
	global_load_ushort v232, v[232:233], off
	ds_read_b128 v[34:37], v88 offset:256
	s_waitcnt lgkmcnt(4)
	v_mul_u32_u24_sdwa v240, v30, v230 dst_sel:DWORD dst_unused:UNUSED_PAD src0_sel:WORD_0 src1_sel:DWORD
	v_mul_u32_u24_sdwa v30, v30, v230 dst_sel:DWORD dst_unused:UNUSED_PAD src0_sel:WORD_1 src1_sel:DWORD
	s_waitcnt lgkmcnt(0)
	v_mul_u32_u24_sdwa v241, v34, v230 dst_sel:DWORD dst_unused:UNUSED_PAD src0_sel:WORD_0 src1_sel:DWORD
	v_mul_u32_u24_sdwa v34, v34, v230 dst_sel:DWORD dst_unused:UNUSED_PAD src0_sel:WORD_1 src1_sel:DWORD
	s_waitcnt vmcnt(1)
	v_ashrrev_i32_e32 v234, v229, v234
	s_waitcnt vmcnt(0)
	v_mul_u32_u24_e32 v232, 0x10001, v232
	v_and_b32_e32 v234, 0xf0f0f0f, v234
	v_lshrrev_b32_e32 v235, 16, v234
	v_and_b32_e32 v242, 0xf00, v235
	v_lshlrev_b16 v235, 8, v235
	v_add_nc_u16 v235, 0xf800, v235
	v_or_b32_sdwa v235, v242, v235 dst_sel:DWORD dst_unused:UNUSED_PAD src0_sel:DWORD src1_sel:BYTE_1
	v_and_b32_e32 v242, 0xf00, v234
	v_lshlrev_b16 v234, 8, v234
	v_add_nc_u16 v235, 0xf800, v235
	v_add_nc_u16 v234, 0xf800, v234
	v_or_b32_sdwa v234, v242, v234 dst_sel:DWORD dst_unused:UNUSED_PAD src0_sel:DWORD src1_sel:BYTE_1
	v_add_nc_u16 v234, 0xf800, v234
	v_lshrrev_b32_e32 v233, 8, v234
	v_cvt_f16_i16_sdwa v234, sext(v234) dst_sel:DWORD dst_unused:UNUSED_PAD src0_sel:BYTE_0
	v_cvt_f16_i16_sdwa v233, sext(v233) dst_sel:DWORD dst_unused:UNUSED_PAD src0_sel:BYTE_0
	v_pack_b32_f16 v233, v234, v233
	v_lshrrev_b32_e32 v234, 8, v235
	v_cvt_f16_i16_sdwa v235, sext(v235) dst_sel:DWORD dst_unused:UNUSED_PAD src0_sel:BYTE_0
	v_pk_mul_f16 v233, v233, v232
	v_cvt_f16_i16_sdwa v234, sext(v234) dst_sel:DWORD dst_unused:UNUSED_PAD src0_sel:BYTE_0
	v_pk_fma_f16 v236, v233, v240, v236
	v_pack_b32_f16 v234, v235, v234
	v_pk_fma_f16 v238, v233, v241, v238
	v_pk_mul_f16 v232, v234, v232
	v_pk_fma_f16 v237, v232, v240, v237
	v_pk_fma_f16 v239, v232, v241, v239
	v_add_co_u32 v232, vcc_lo, v227, s28
	v_add_co_ci_u32_e64 v233, null, 0, v228, vcc_lo
	v_add_co_u32 v234, vcc_lo, v225, s28
	v_add_co_ci_u32_e64 v235, null, 0, v226, vcc_lo
	global_load_ushort v232, v[232:233], off
	global_load_dword v234, v[234:235], off
	s_waitcnt vmcnt(1)
	v_mul_u32_u24_e32 v232, 0x10001, v232
	s_waitcnt vmcnt(0)
	v_ashrrev_i32_e32 v234, v229, v234
	v_and_b32_e32 v234, 0xf0f0f0f, v234
	v_lshrrev_b32_e32 v235, 16, v234
	v_and_b32_e32 v240, 0xf00, v235
	v_lshlrev_b16 v235, 8, v235
	v_add_nc_u16 v235, 0xf800, v235
	v_or_b32_sdwa v235, v240, v235 dst_sel:DWORD dst_unused:UNUSED_PAD src0_sel:DWORD src1_sel:BYTE_1
	v_and_b32_e32 v240, 0xf00, v234
	v_lshlrev_b16 v234, 8, v234
	v_add_nc_u16 v235, 0xf800, v235
	v_add_nc_u16 v234, 0xf800, v234
	v_or_b32_sdwa v234, v240, v234 dst_sel:DWORD dst_unused:UNUSED_PAD src0_sel:DWORD src1_sel:BYTE_1
	v_add_nc_u16 v234, 0xf800, v234
	v_lshrrev_b32_e32 v233, 8, v234
	v_cvt_f16_i16_sdwa v234, sext(v234) dst_sel:DWORD dst_unused:UNUSED_PAD src0_sel:BYTE_0
	v_cvt_f16_i16_sdwa v233, sext(v233) dst_sel:DWORD dst_unused:UNUSED_PAD src0_sel:BYTE_0
	v_pack_b32_f16 v233, v234, v233
	v_lshrrev_b32_e32 v234, 8, v235
	v_cvt_f16_i16_sdwa v235, sext(v235) dst_sel:DWORD dst_unused:UNUSED_PAD src0_sel:BYTE_0
	v_pk_mul_f16 v233, v233, v232
	v_cvt_f16_i16_sdwa v234, sext(v234) dst_sel:DWORD dst_unused:UNUSED_PAD src0_sel:BYTE_0
	v_pk_fma_f16 v236, v233, v30, v236
	v_pack_b32_f16 v234, v235, v234
	v_pk_fma_f16 v238, v233, v34, v238
	v_pk_mul_f16 v232, v234, v232
	v_pk_fma_f16 v30, v232, v30, v237
	v_pk_fma_f16 v34, v232, v34, v239
	v_add_co_u32 v232, vcc_lo, v223, s28
	v_add_co_ci_u32_e64 v233, null, 0, v224, vcc_lo
	v_add_co_u32 v234, vcc_lo, v221, s28
	v_add_co_ci_u32_e64 v235, null, 0, v222, vcc_lo
	global_load_ushort v232, v[232:233], off
	v_mul_u32_u24_sdwa v237, v31, v230 dst_sel:DWORD dst_unused:UNUSED_PAD src0_sel:WORD_0 src1_sel:DWORD
	v_mul_u32_u24_sdwa v239, v35, v230 dst_sel:DWORD dst_unused:UNUSED_PAD src0_sel:WORD_0 src1_sel:DWORD
	global_load_dword v234, v[234:235], off
	s_waitcnt vmcnt(1)
	v_mul_u32_u24_e32 v232, 0x10001, v232
	s_waitcnt vmcnt(0)
	v_ashrrev_i32_e32 v234, v229, v234
	v_and_b32_e32 v234, 0xf0f0f0f, v234
	v_lshrrev_b32_e32 v235, 16, v234
	v_and_b32_e32 v240, 0xf00, v235
	v_lshlrev_b16 v235, 8, v235
	v_add_nc_u16 v235, 0xf800, v235
	v_or_b32_sdwa v235, v240, v235 dst_sel:DWORD dst_unused:UNUSED_PAD src0_sel:DWORD src1_sel:BYTE_1
	v_and_b32_e32 v240, 0xf00, v234
	v_lshlrev_b16 v234, 8, v234
	v_add_nc_u16 v235, 0xf800, v235
	v_add_nc_u16 v234, 0xf800, v234
	v_or_b32_sdwa v234, v240, v234 dst_sel:DWORD dst_unused:UNUSED_PAD src0_sel:DWORD src1_sel:BYTE_1
	v_add_nc_u16 v234, 0xf800, v234
	v_lshrrev_b32_e32 v233, 8, v234
	v_cvt_f16_i16_sdwa v234, sext(v234) dst_sel:DWORD dst_unused:UNUSED_PAD src0_sel:BYTE_0
	v_cvt_f16_i16_sdwa v233, sext(v233) dst_sel:DWORD dst_unused:UNUSED_PAD src0_sel:BYTE_0
	v_pack_b32_f16 v233, v234, v233
	v_lshrrev_b32_e32 v234, 8, v235
	v_cvt_f16_i16_sdwa v235, sext(v235) dst_sel:DWORD dst_unused:UNUSED_PAD src0_sel:BYTE_0
	v_pk_mul_f16 v233, v233, v232
	v_cvt_f16_i16_sdwa v234, sext(v234) dst_sel:DWORD dst_unused:UNUSED_PAD src0_sel:BYTE_0
	v_pack_b32_f16 v234, v235, v234
	v_pk_mul_f16 v232, v234, v232
	v_pk_fma_f16 v234, v233, v237, v236
	v_mul_u32_u24_sdwa v236, v31, v230 dst_sel:DWORD dst_unused:UNUSED_PAD src0_sel:WORD_1 src1_sel:DWORD
	v_pk_fma_f16 v233, v233, v239, v238
	v_pk_fma_f16 v235, v232, v237, v30
	v_add_co_u32 v30, vcc_lo, v219, s28
	v_pk_fma_f16 v232, v232, v239, v34
	v_add_co_ci_u32_e64 v31, null, 0, v220, vcc_lo
	v_add_co_u32 v34, vcc_lo, v217, s28
	v_mul_u32_u24_sdwa v237, v35, v230 dst_sel:DWORD dst_unused:UNUSED_PAD src0_sel:WORD_1 src1_sel:DWORD
	v_add_co_ci_u32_e64 v35, null, 0, v218, vcc_lo
	global_load_ushort v30, v[30:31], off
	global_load_dword v34, v[34:35], off
	s_waitcnt vmcnt(1)
	v_mul_u32_u24_e32 v30, 0x10001, v30
	s_waitcnt vmcnt(0)
	v_ashrrev_i32_e32 v34, v229, v34
	v_and_b32_e32 v34, 0xf0f0f0f, v34
	v_lshrrev_b32_e32 v35, 16, v34
	v_and_b32_e32 v238, 0xf00, v35
	v_lshlrev_b16 v35, 8, v35
	v_add_nc_u16 v35, 0xf800, v35
	v_or_b32_sdwa v35, v238, v35 dst_sel:DWORD dst_unused:UNUSED_PAD src0_sel:DWORD src1_sel:BYTE_1
	v_and_b32_e32 v238, 0xf00, v34
	v_lshlrev_b16 v34, 8, v34
	v_add_nc_u16 v35, 0xf800, v35
	v_add_nc_u16 v34, 0xf800, v34
	v_or_b32_sdwa v34, v238, v34 dst_sel:DWORD dst_unused:UNUSED_PAD src0_sel:DWORD src1_sel:BYTE_1
	v_add_nc_u16 v34, 0xf800, v34
	v_lshrrev_b32_e32 v31, 8, v34
	v_cvt_f16_i16_sdwa v34, sext(v34) dst_sel:DWORD dst_unused:UNUSED_PAD src0_sel:BYTE_0
	v_cvt_f16_i16_sdwa v31, sext(v31) dst_sel:DWORD dst_unused:UNUSED_PAD src0_sel:BYTE_0
	v_pack_b32_f16 v31, v34, v31
	v_lshrrev_b32_e32 v34, 8, v35
	v_cvt_f16_i16_sdwa v35, sext(v35) dst_sel:DWORD dst_unused:UNUSED_PAD src0_sel:BYTE_0
	v_pk_mul_f16 v31, v31, v30
	v_cvt_f16_i16_sdwa v34, sext(v34) dst_sel:DWORD dst_unused:UNUSED_PAD src0_sel:BYTE_0
	v_pk_fma_f16 v234, v31, v236, v234
	v_pack_b32_f16 v34, v35, v34
	v_pk_fma_f16 v233, v31, v237, v233
	v_pk_mul_f16 v30, v34, v30
	v_pk_fma_f16 v235, v30, v236, v235
	v_pk_fma_f16 v232, v30, v237, v232
	v_add_co_u32 v30, vcc_lo, v215, s28
	v_add_co_ci_u32_e64 v31, null, 0, v216, vcc_lo
	v_add_co_u32 v34, vcc_lo, v213, s28
	v_add_co_ci_u32_e64 v35, null, 0, v214, vcc_lo
	global_load_ushort v30, v[30:31], off
	v_mul_u32_u24_sdwa v236, v32, v230 dst_sel:DWORD dst_unused:UNUSED_PAD src0_sel:WORD_0 src1_sel:DWORD
	v_mul_u32_u24_sdwa v237, v36, v230 dst_sel:DWORD dst_unused:UNUSED_PAD src0_sel:WORD_0 src1_sel:DWORD
	global_load_dword v34, v[34:35], off
	v_mul_u32_u24_sdwa v32, v32, v230 dst_sel:DWORD dst_unused:UNUSED_PAD src0_sel:WORD_1 src1_sel:DWORD
	v_mul_u32_u24_sdwa v36, v36, v230 dst_sel:DWORD dst_unused:UNUSED_PAD src0_sel:WORD_1 src1_sel:DWORD
	s_waitcnt vmcnt(1)
	v_mul_u32_u24_e32 v30, 0x10001, v30
	s_waitcnt vmcnt(0)
	v_ashrrev_i32_e32 v34, v229, v34
	v_and_b32_e32 v34, 0xf0f0f0f, v34
	v_lshrrev_b32_e32 v35, 16, v34
	v_and_b32_e32 v238, 0xf00, v35
	v_lshlrev_b16 v35, 8, v35
	v_add_nc_u16 v35, 0xf800, v35
	v_or_b32_sdwa v35, v238, v35 dst_sel:DWORD dst_unused:UNUSED_PAD src0_sel:DWORD src1_sel:BYTE_1
	v_and_b32_e32 v238, 0xf00, v34
	v_lshlrev_b16 v34, 8, v34
	v_add_nc_u16 v35, 0xf800, v35
	v_add_nc_u16 v34, 0xf800, v34
	v_or_b32_sdwa v34, v238, v34 dst_sel:DWORD dst_unused:UNUSED_PAD src0_sel:DWORD src1_sel:BYTE_1
	v_add_nc_u16 v34, 0xf800, v34
	v_lshrrev_b32_e32 v31, 8, v34
	v_cvt_f16_i16_sdwa v34, sext(v34) dst_sel:DWORD dst_unused:UNUSED_PAD src0_sel:BYTE_0
	v_cvt_f16_i16_sdwa v31, sext(v31) dst_sel:DWORD dst_unused:UNUSED_PAD src0_sel:BYTE_0
	v_pack_b32_f16 v31, v34, v31
	v_lshrrev_b32_e32 v34, 8, v35
	v_cvt_f16_i16_sdwa v35, sext(v35) dst_sel:DWORD dst_unused:UNUSED_PAD src0_sel:BYTE_0
	v_pk_mul_f16 v31, v31, v30
	v_cvt_f16_i16_sdwa v34, sext(v34) dst_sel:DWORD dst_unused:UNUSED_PAD src0_sel:BYTE_0
	v_pk_fma_f16 v234, v31, v236, v234
	v_pack_b32_f16 v34, v35, v34
	v_pk_fma_f16 v233, v31, v237, v233
	v_pk_mul_f16 v30, v34, v30
	v_pk_fma_f16 v235, v30, v236, v235
	v_pk_fma_f16 v232, v30, v237, v232
	v_add_co_u32 v30, vcc_lo, v211, s28
	v_add_co_ci_u32_e64 v31, null, 0, v212, vcc_lo
	v_add_co_u32 v34, vcc_lo, v209, s28
	v_add_co_ci_u32_e64 v35, null, 0, v210, vcc_lo
	global_load_ushort v30, v[30:31], off
	global_load_dword v34, v[34:35], off
	s_waitcnt vmcnt(1)
	v_mul_u32_u24_e32 v30, 0x10001, v30
	s_waitcnt vmcnt(0)
	v_ashrrev_i32_e32 v34, v229, v34
	v_and_b32_e32 v34, 0xf0f0f0f, v34
	v_lshrrev_b32_e32 v35, 16, v34
	v_and_b32_e32 v236, 0xf00, v35
	v_lshlrev_b16 v35, 8, v35
	v_add_nc_u16 v35, 0xf800, v35
	v_or_b32_sdwa v35, v236, v35 dst_sel:DWORD dst_unused:UNUSED_PAD src0_sel:DWORD src1_sel:BYTE_1
	v_and_b32_e32 v236, 0xf00, v34
	v_lshlrev_b16 v34, 8, v34
	v_add_nc_u16 v35, 0xf800, v35
	v_add_nc_u16 v34, 0xf800, v34
	v_or_b32_sdwa v34, v236, v34 dst_sel:DWORD dst_unused:UNUSED_PAD src0_sel:DWORD src1_sel:BYTE_1
	v_add_nc_u16 v34, 0xf800, v34
	v_lshrrev_b32_e32 v31, 8, v34
	v_cvt_f16_i16_sdwa v34, sext(v34) dst_sel:DWORD dst_unused:UNUSED_PAD src0_sel:BYTE_0
	v_cvt_f16_i16_sdwa v31, sext(v31) dst_sel:DWORD dst_unused:UNUSED_PAD src0_sel:BYTE_0
	v_pack_b32_f16 v31, v34, v31
	v_lshrrev_b32_e32 v34, 8, v35
	v_cvt_f16_i16_sdwa v35, sext(v35) dst_sel:DWORD dst_unused:UNUSED_PAD src0_sel:BYTE_0
	v_pk_mul_f16 v31, v31, v30
	v_cvt_f16_i16_sdwa v34, sext(v34) dst_sel:DWORD dst_unused:UNUSED_PAD src0_sel:BYTE_0
	v_pk_fma_f16 v234, v31, v32, v234
	v_pack_b32_f16 v34, v35, v34
	v_pk_fma_f16 v233, v31, v36, v233
	v_pk_mul_f16 v30, v34, v30
	v_pk_fma_f16 v32, v30, v32, v235
	v_pk_fma_f16 v36, v30, v36, v232
	v_add_co_u32 v30, vcc_lo, v207, s28
	v_add_co_ci_u32_e64 v31, null, 0, v208, vcc_lo
	v_add_co_u32 v34, vcc_lo, v205, s28
	v_add_co_ci_u32_e64 v35, null, 0, v206, vcc_lo
	global_load_ushort v30, v[30:31], off
	v_mul_u32_u24_sdwa v232, v33, v230 dst_sel:DWORD dst_unused:UNUSED_PAD src0_sel:WORD_0 src1_sel:DWORD
	v_mul_u32_u24_sdwa v235, v37, v230 dst_sel:DWORD dst_unused:UNUSED_PAD src0_sel:WORD_0 src1_sel:DWORD
	global_load_dword v34, v[34:35], off
	v_mul_u32_u24_sdwa v37, v37, v230 dst_sel:DWORD dst_unused:UNUSED_PAD src0_sel:WORD_1 src1_sel:DWORD
	s_waitcnt vmcnt(1)
	v_mul_u32_u24_e32 v30, 0x10001, v30
	s_waitcnt vmcnt(0)
	v_ashrrev_i32_e32 v34, v229, v34
	v_and_b32_e32 v34, 0xf0f0f0f, v34
	v_lshrrev_b32_e32 v35, 16, v34
	v_and_b32_e32 v236, 0xf00, v35
	v_lshlrev_b16 v35, 8, v35
	v_add_nc_u16 v35, 0xf800, v35
	v_or_b32_sdwa v35, v236, v35 dst_sel:DWORD dst_unused:UNUSED_PAD src0_sel:DWORD src1_sel:BYTE_1
	v_and_b32_e32 v236, 0xf00, v34
	v_lshlrev_b16 v34, 8, v34
	v_add_nc_u16 v35, 0xf800, v35
	v_add_nc_u16 v34, 0xf800, v34
	v_or_b32_sdwa v34, v236, v34 dst_sel:DWORD dst_unused:UNUSED_PAD src0_sel:DWORD src1_sel:BYTE_1
	v_mul_u32_u24_sdwa v236, v26, v230 dst_sel:DWORD dst_unused:UNUSED_PAD src0_sel:WORD_0 src1_sel:DWORD
	v_mul_u32_u24_sdwa v26, v26, v230 dst_sel:DWORD dst_unused:UNUSED_PAD src0_sel:WORD_1 src1_sel:DWORD
	v_add_nc_u16 v34, 0xf800, v34
	v_lshrrev_b32_e32 v31, 8, v34
	v_cvt_f16_i16_sdwa v34, sext(v34) dst_sel:DWORD dst_unused:UNUSED_PAD src0_sel:BYTE_0
	v_cvt_f16_i16_sdwa v31, sext(v31) dst_sel:DWORD dst_unused:UNUSED_PAD src0_sel:BYTE_0
	v_pack_b32_f16 v31, v34, v31
	v_lshrrev_b32_e32 v34, 8, v35
	v_cvt_f16_i16_sdwa v35, sext(v35) dst_sel:DWORD dst_unused:UNUSED_PAD src0_sel:BYTE_0
	v_pk_mul_f16 v31, v31, v30
	v_cvt_f16_i16_sdwa v34, sext(v34) dst_sel:DWORD dst_unused:UNUSED_PAD src0_sel:BYTE_0
	v_pack_b32_f16 v34, v35, v34
	v_pk_fma_f16 v35, v31, v235, v233
	v_mul_u32_u24_sdwa v233, v33, v230 dst_sel:DWORD dst_unused:UNUSED_PAD src0_sel:WORD_1 src1_sel:DWORD
	v_pk_mul_f16 v30, v34, v30
	v_pk_fma_f16 v34, v31, v232, v234
	v_pk_fma_f16 v232, v30, v232, v32
	;; [unrolled: 1-line block ×3, first 2 shown]
	v_add_co_u32 v30, vcc_lo, v203, s28
	v_add_co_ci_u32_e64 v31, null, 0, v204, vcc_lo
	v_add_co_u32 v32, vcc_lo, v201, s28
	v_add_co_ci_u32_e64 v33, null, 0, v202, vcc_lo
	global_load_ushort v30, v[30:31], off
	global_load_dword v32, v[32:33], off
	s_waitcnt vmcnt(1)
	v_mul_u32_u24_e32 v30, 0x10001, v30
	s_waitcnt vmcnt(0)
	v_ashrrev_i32_e32 v32, v229, v32
	v_and_b32_e32 v32, 0xf0f0f0f, v32
	v_lshrrev_b32_e32 v33, 16, v32
	v_and_b32_e32 v234, 0xf00, v33
	v_lshlrev_b16 v33, 8, v33
	v_add_nc_u16 v33, 0xf800, v33
	v_or_b32_sdwa v33, v234, v33 dst_sel:DWORD dst_unused:UNUSED_PAD src0_sel:DWORD src1_sel:BYTE_1
	v_and_b32_e32 v234, 0xf00, v32
	v_lshlrev_b16 v32, 8, v32
	v_add_nc_u16 v33, 0xf800, v33
	v_add_nc_u16 v32, 0xf800, v32
	v_or_b32_sdwa v32, v234, v32 dst_sel:DWORD dst_unused:UNUSED_PAD src0_sel:DWORD src1_sel:BYTE_1
	v_add_nc_u16 v32, 0xf800, v32
	v_lshrrev_b32_e32 v31, 8, v32
	v_cvt_f16_i16_sdwa v32, sext(v32) dst_sel:DWORD dst_unused:UNUSED_PAD src0_sel:BYTE_0
	v_cvt_f16_i16_sdwa v31, sext(v31) dst_sel:DWORD dst_unused:UNUSED_PAD src0_sel:BYTE_0
	v_pack_b32_f16 v31, v32, v31
	v_lshrrev_b32_e32 v32, 8, v33
	v_cvt_f16_i16_sdwa v33, sext(v33) dst_sel:DWORD dst_unused:UNUSED_PAD src0_sel:BYTE_0
	v_pk_mul_f16 v31, v31, v30
	v_cvt_f16_i16_sdwa v32, sext(v32) dst_sel:DWORD dst_unused:UNUSED_PAD src0_sel:BYTE_0
	v_pk_fma_f16 v234, v31, v233, v34
	v_pack_b32_f16 v32, v33, v32
	v_add_co_u32 v34, vcc_lo, v199, s28
	v_pk_fma_f16 v235, v31, v37, v35
	v_add_co_ci_u32_e64 v35, null, 0, v200, vcc_lo
	v_pk_mul_f16 v30, v32, v30
	global_load_ushort v34, v[34:35], off
	v_pk_fma_f16 v232, v30, v233, v232
	v_pk_fma_f16 v233, v30, v37, v36
	v_add_co_u32 v36, vcc_lo, v197, s28
	v_add_co_ci_u32_e64 v37, null, 0, v198, vcc_lo
	ds_read_b128 v[30:33], v88 offset:272
	global_load_dword v36, v[36:37], off
	s_waitcnt lgkmcnt(0)
	v_mul_u32_u24_sdwa v237, v30, v230 dst_sel:DWORD dst_unused:UNUSED_PAD src0_sel:WORD_0 src1_sel:DWORD
	v_mul_u32_u24_sdwa v30, v30, v230 dst_sel:DWORD dst_unused:UNUSED_PAD src0_sel:WORD_1 src1_sel:DWORD
	s_waitcnt vmcnt(1)
	v_mul_u32_u24_e32 v34, 0x10001, v34
	s_waitcnt vmcnt(0)
	v_ashrrev_i32_e32 v36, v229, v36
	v_and_b32_e32 v36, 0xf0f0f0f, v36
	v_lshrrev_b32_e32 v37, 16, v36
	v_and_b32_e32 v238, 0xf00, v37
	v_lshlrev_b16 v37, 8, v37
	v_add_nc_u16 v37, 0xf800, v37
	v_or_b32_sdwa v37, v238, v37 dst_sel:DWORD dst_unused:UNUSED_PAD src0_sel:DWORD src1_sel:BYTE_1
	v_and_b32_e32 v238, 0xf00, v36
	v_lshlrev_b16 v36, 8, v36
	v_add_nc_u16 v37, 0xf800, v37
	v_add_nc_u16 v36, 0xf800, v36
	v_or_b32_sdwa v36, v238, v36 dst_sel:DWORD dst_unused:UNUSED_PAD src0_sel:DWORD src1_sel:BYTE_1
	v_add_nc_u16 v36, 0xf800, v36
	v_lshrrev_b32_e32 v35, 8, v36
	v_cvt_f16_i16_sdwa v36, sext(v36) dst_sel:DWORD dst_unused:UNUSED_PAD src0_sel:BYTE_0
	v_cvt_f16_i16_sdwa v35, sext(v35) dst_sel:DWORD dst_unused:UNUSED_PAD src0_sel:BYTE_0
	v_pack_b32_f16 v35, v36, v35
	v_lshrrev_b32_e32 v36, 8, v37
	v_cvt_f16_i16_sdwa v37, sext(v37) dst_sel:DWORD dst_unused:UNUSED_PAD src0_sel:BYTE_0
	v_pk_mul_f16 v35, v35, v34
	v_cvt_f16_i16_sdwa v36, sext(v36) dst_sel:DWORD dst_unused:UNUSED_PAD src0_sel:BYTE_0
	v_pk_fma_f16 v234, v35, v236, v234
	v_pack_b32_f16 v36, v37, v36
	v_pk_fma_f16 v235, v35, v237, v235
	v_pk_mul_f16 v34, v36, v34
	v_pk_fma_f16 v232, v34, v236, v232
	v_pk_fma_f16 v233, v34, v237, v233
	v_add_co_u32 v34, vcc_lo, v195, s28
	v_add_co_ci_u32_e64 v35, null, 0, v196, vcc_lo
	v_add_co_u32 v36, vcc_lo, v193, s28
	v_add_co_ci_u32_e64 v37, null, 0, v194, vcc_lo
	global_load_ushort v34, v[34:35], off
	global_load_dword v36, v[36:37], off
	s_waitcnt vmcnt(1)
	v_mul_u32_u24_e32 v34, 0x10001, v34
	s_waitcnt vmcnt(0)
	v_ashrrev_i32_e32 v36, v229, v36
	v_and_b32_e32 v36, 0xf0f0f0f, v36
	v_lshrrev_b32_e32 v37, 16, v36
	v_and_b32_e32 v236, 0xf00, v37
	v_lshlrev_b16 v37, 8, v37
	v_add_nc_u16 v37, 0xf800, v37
	v_or_b32_sdwa v37, v236, v37 dst_sel:DWORD dst_unused:UNUSED_PAD src0_sel:DWORD src1_sel:BYTE_1
	v_and_b32_e32 v236, 0xf00, v36
	v_lshlrev_b16 v36, 8, v36
	v_add_nc_u16 v37, 0xf800, v37
	v_add_nc_u16 v36, 0xf800, v36
	v_or_b32_sdwa v36, v236, v36 dst_sel:DWORD dst_unused:UNUSED_PAD src0_sel:DWORD src1_sel:BYTE_1
	v_add_nc_u16 v36, 0xf800, v36
	v_lshrrev_b32_e32 v35, 8, v36
	v_cvt_f16_i16_sdwa v36, sext(v36) dst_sel:DWORD dst_unused:UNUSED_PAD src0_sel:BYTE_0
	v_cvt_f16_i16_sdwa v35, sext(v35) dst_sel:DWORD dst_unused:UNUSED_PAD src0_sel:BYTE_0
	v_pack_b32_f16 v35, v36, v35
	v_lshrrev_b32_e32 v36, 8, v37
	v_cvt_f16_i16_sdwa v37, sext(v37) dst_sel:DWORD dst_unused:UNUSED_PAD src0_sel:BYTE_0
	v_pk_mul_f16 v35, v35, v34
	v_cvt_f16_i16_sdwa v36, sext(v36) dst_sel:DWORD dst_unused:UNUSED_PAD src0_sel:BYTE_0
	v_pk_fma_f16 v234, v35, v26, v234
	v_pack_b32_f16 v36, v37, v36
	v_pk_fma_f16 v235, v35, v30, v235
	v_pk_mul_f16 v34, v36, v34
	v_pk_fma_f16 v26, v34, v26, v232
	v_pk_fma_f16 v30, v34, v30, v233
	v_add_co_u32 v34, vcc_lo, v191, s28
	v_add_co_ci_u32_e64 v35, null, 0, v192, vcc_lo
	v_add_co_u32 v36, vcc_lo, v189, s28
	v_add_co_ci_u32_e64 v37, null, 0, v190, vcc_lo
	global_load_ushort v34, v[34:35], off
	v_mul_u32_u24_sdwa v232, v27, v230 dst_sel:DWORD dst_unused:UNUSED_PAD src0_sel:WORD_0 src1_sel:DWORD
	v_mul_u32_u24_sdwa v233, v31, v230 dst_sel:DWORD dst_unused:UNUSED_PAD src0_sel:WORD_0 src1_sel:DWORD
	global_load_dword v36, v[36:37], off
	s_waitcnt vmcnt(1)
	v_mul_u32_u24_e32 v34, 0x10001, v34
	s_waitcnt vmcnt(0)
	v_ashrrev_i32_e32 v36, v229, v36
	v_and_b32_e32 v36, 0xf0f0f0f, v36
	v_lshrrev_b32_e32 v37, 16, v36
	v_and_b32_e32 v236, 0xf00, v37
	v_lshlrev_b16 v37, 8, v37
	v_add_nc_u16 v37, 0xf800, v37
	v_or_b32_sdwa v37, v236, v37 dst_sel:DWORD dst_unused:UNUSED_PAD src0_sel:DWORD src1_sel:BYTE_1
	v_and_b32_e32 v236, 0xf00, v36
	v_lshlrev_b16 v36, 8, v36
	v_add_nc_u16 v37, 0xf800, v37
	v_add_nc_u16 v36, 0xf800, v36
	v_or_b32_sdwa v36, v236, v36 dst_sel:DWORD dst_unused:UNUSED_PAD src0_sel:DWORD src1_sel:BYTE_1
	v_add_nc_u16 v36, 0xf800, v36
	v_lshrrev_b32_e32 v35, 8, v36
	v_cvt_f16_i16_sdwa v36, sext(v36) dst_sel:DWORD dst_unused:UNUSED_PAD src0_sel:BYTE_0
	v_cvt_f16_i16_sdwa v35, sext(v35) dst_sel:DWORD dst_unused:UNUSED_PAD src0_sel:BYTE_0
	v_pack_b32_f16 v35, v36, v35
	v_lshrrev_b32_e32 v36, 8, v37
	v_cvt_f16_i16_sdwa v37, sext(v37) dst_sel:DWORD dst_unused:UNUSED_PAD src0_sel:BYTE_0
	v_pk_mul_f16 v35, v35, v34
	v_cvt_f16_i16_sdwa v36, sext(v36) dst_sel:DWORD dst_unused:UNUSED_PAD src0_sel:BYTE_0
	v_pack_b32_f16 v36, v37, v36
	v_pk_mul_f16 v34, v36, v34
	v_pk_fma_f16 v36, v35, v232, v234
	v_pk_fma_f16 v35, v35, v233, v235
	;; [unrolled: 1-line block ×3, first 2 shown]
	v_add_co_u32 v26, vcc_lo, v187, s28
	v_pk_fma_f16 v34, v34, v233, v30
	v_mul_u32_u24_sdwa v232, v27, v230 dst_sel:DWORD dst_unused:UNUSED_PAD src0_sel:WORD_1 src1_sel:DWORD
	v_add_co_ci_u32_e64 v27, null, 0, v188, vcc_lo
	v_add_co_u32 v30, vcc_lo, v185, s28
	v_mul_u32_u24_sdwa v233, v31, v230 dst_sel:DWORD dst_unused:UNUSED_PAD src0_sel:WORD_1 src1_sel:DWORD
	v_add_co_ci_u32_e64 v31, null, 0, v186, vcc_lo
	global_load_ushort v26, v[26:27], off
	global_load_dword v30, v[30:31], off
	s_waitcnt vmcnt(1)
	v_mul_u32_u24_e32 v26, 0x10001, v26
	s_waitcnt vmcnt(0)
	v_ashrrev_i32_e32 v30, v229, v30
	v_and_b32_e32 v30, 0xf0f0f0f, v30
	v_lshrrev_b32_e32 v31, 16, v30
	v_and_b32_e32 v234, 0xf00, v31
	v_lshlrev_b16 v31, 8, v31
	v_add_nc_u16 v31, 0xf800, v31
	v_or_b32_sdwa v31, v234, v31 dst_sel:DWORD dst_unused:UNUSED_PAD src0_sel:DWORD src1_sel:BYTE_1
	v_and_b32_e32 v234, 0xf00, v30
	v_lshlrev_b16 v30, 8, v30
	v_add_nc_u16 v31, 0xf800, v31
	v_add_nc_u16 v30, 0xf800, v30
	v_or_b32_sdwa v30, v234, v30 dst_sel:DWORD dst_unused:UNUSED_PAD src0_sel:DWORD src1_sel:BYTE_1
	v_add_nc_u16 v30, 0xf800, v30
	v_lshrrev_b32_e32 v27, 8, v30
	v_cvt_f16_i16_sdwa v30, sext(v30) dst_sel:DWORD dst_unused:UNUSED_PAD src0_sel:BYTE_0
	v_cvt_f16_i16_sdwa v27, sext(v27) dst_sel:DWORD dst_unused:UNUSED_PAD src0_sel:BYTE_0
	v_pack_b32_f16 v27, v30, v27
	v_lshrrev_b32_e32 v30, 8, v31
	v_cvt_f16_i16_sdwa v31, sext(v31) dst_sel:DWORD dst_unused:UNUSED_PAD src0_sel:BYTE_0
	v_pk_mul_f16 v27, v27, v26
	v_cvt_f16_i16_sdwa v30, sext(v30) dst_sel:DWORD dst_unused:UNUSED_PAD src0_sel:BYTE_0
	v_pk_fma_f16 v36, v27, v232, v36
	v_pack_b32_f16 v30, v31, v30
	v_pk_fma_f16 v35, v27, v233, v35
	v_pk_mul_f16 v26, v30, v26
	v_pk_fma_f16 v37, v26, v232, v37
	v_pk_fma_f16 v34, v26, v233, v34
	v_add_co_u32 v26, vcc_lo, v183, s28
	v_add_co_ci_u32_e64 v27, null, 0, v184, vcc_lo
	v_add_co_u32 v30, vcc_lo, v181, s28
	v_add_co_ci_u32_e64 v31, null, 0, v182, vcc_lo
	global_load_ushort v26, v[26:27], off
	v_mul_u32_u24_sdwa v232, v28, v230 dst_sel:DWORD dst_unused:UNUSED_PAD src0_sel:WORD_0 src1_sel:DWORD
	v_mul_u32_u24_sdwa v233, v32, v230 dst_sel:DWORD dst_unused:UNUSED_PAD src0_sel:WORD_0 src1_sel:DWORD
	global_load_dword v30, v[30:31], off
	v_mul_u32_u24_sdwa v28, v28, v230 dst_sel:DWORD dst_unused:UNUSED_PAD src0_sel:WORD_1 src1_sel:DWORD
	v_mul_u32_u24_sdwa v32, v32, v230 dst_sel:DWORD dst_unused:UNUSED_PAD src0_sel:WORD_1 src1_sel:DWORD
	s_waitcnt vmcnt(1)
	v_mul_u32_u24_e32 v26, 0x10001, v26
	s_waitcnt vmcnt(0)
	v_ashrrev_i32_e32 v30, v229, v30
	v_and_b32_e32 v30, 0xf0f0f0f, v30
	v_lshrrev_b32_e32 v31, 16, v30
	v_and_b32_e32 v234, 0xf00, v31
	v_lshlrev_b16 v31, 8, v31
	v_add_nc_u16 v31, 0xf800, v31
	v_or_b32_sdwa v31, v234, v31 dst_sel:DWORD dst_unused:UNUSED_PAD src0_sel:DWORD src1_sel:BYTE_1
	v_and_b32_e32 v234, 0xf00, v30
	v_lshlrev_b16 v30, 8, v30
	v_add_nc_u16 v31, 0xf800, v31
	v_add_nc_u16 v30, 0xf800, v30
	v_or_b32_sdwa v30, v234, v30 dst_sel:DWORD dst_unused:UNUSED_PAD src0_sel:DWORD src1_sel:BYTE_1
	v_add_nc_u16 v30, 0xf800, v30
	v_lshrrev_b32_e32 v27, 8, v30
	v_cvt_f16_i16_sdwa v30, sext(v30) dst_sel:DWORD dst_unused:UNUSED_PAD src0_sel:BYTE_0
	v_cvt_f16_i16_sdwa v27, sext(v27) dst_sel:DWORD dst_unused:UNUSED_PAD src0_sel:BYTE_0
	v_pack_b32_f16 v27, v30, v27
	v_lshrrev_b32_e32 v30, 8, v31
	v_cvt_f16_i16_sdwa v31, sext(v31) dst_sel:DWORD dst_unused:UNUSED_PAD src0_sel:BYTE_0
	v_pk_mul_f16 v27, v27, v26
	v_cvt_f16_i16_sdwa v30, sext(v30) dst_sel:DWORD dst_unused:UNUSED_PAD src0_sel:BYTE_0
	v_pk_fma_f16 v36, v27, v232, v36
	v_pack_b32_f16 v30, v31, v30
	v_pk_fma_f16 v35, v27, v233, v35
	v_pk_mul_f16 v26, v30, v26
	v_pk_fma_f16 v37, v26, v232, v37
	v_pk_fma_f16 v34, v26, v233, v34
	v_add_co_u32 v26, vcc_lo, v179, s28
	v_add_co_ci_u32_e64 v27, null, 0, v180, vcc_lo
	v_add_co_u32 v30, vcc_lo, v177, s28
	v_add_co_ci_u32_e64 v31, null, 0, v178, vcc_lo
	global_load_ushort v26, v[26:27], off
	global_load_dword v30, v[30:31], off
	s_waitcnt vmcnt(1)
	v_mul_u32_u24_e32 v26, 0x10001, v26
	s_waitcnt vmcnt(0)
	v_ashrrev_i32_e32 v30, v229, v30
	v_and_b32_e32 v30, 0xf0f0f0f, v30
	v_lshrrev_b32_e32 v31, 16, v30
	v_and_b32_e32 v232, 0xf00, v31
	v_lshlrev_b16 v31, 8, v31
	v_add_nc_u16 v31, 0xf800, v31
	v_or_b32_sdwa v31, v232, v31 dst_sel:DWORD dst_unused:UNUSED_PAD src0_sel:DWORD src1_sel:BYTE_1
	v_and_b32_e32 v232, 0xf00, v30
	v_lshlrev_b16 v30, 8, v30
	v_add_nc_u16 v31, 0xf800, v31
	v_add_nc_u16 v30, 0xf800, v30
	v_or_b32_sdwa v30, v232, v30 dst_sel:DWORD dst_unused:UNUSED_PAD src0_sel:DWORD src1_sel:BYTE_1
	v_add_nc_u16 v30, 0xf800, v30
	v_lshrrev_b32_e32 v27, 8, v30
	v_cvt_f16_i16_sdwa v30, sext(v30) dst_sel:DWORD dst_unused:UNUSED_PAD src0_sel:BYTE_0
	v_cvt_f16_i16_sdwa v27, sext(v27) dst_sel:DWORD dst_unused:UNUSED_PAD src0_sel:BYTE_0
	v_pack_b32_f16 v27, v30, v27
	v_lshrrev_b32_e32 v30, 8, v31
	v_cvt_f16_i16_sdwa v31, sext(v31) dst_sel:DWORD dst_unused:UNUSED_PAD src0_sel:BYTE_0
	v_pk_mul_f16 v27, v27, v26
	v_cvt_f16_i16_sdwa v30, sext(v30) dst_sel:DWORD dst_unused:UNUSED_PAD src0_sel:BYTE_0
	v_pk_fma_f16 v36, v27, v28, v36
	v_pack_b32_f16 v30, v31, v30
	v_pk_fma_f16 v35, v27, v32, v35
	v_pk_mul_f16 v26, v30, v26
	v_pk_fma_f16 v28, v26, v28, v37
	v_pk_fma_f16 v32, v26, v32, v34
	v_add_co_u32 v26, vcc_lo, v175, s28
	v_add_co_ci_u32_e64 v27, null, 0, v176, vcc_lo
	v_add_co_u32 v30, vcc_lo, v173, s28
	v_add_co_ci_u32_e64 v31, null, 0, v174, vcc_lo
	global_load_ushort v26, v[26:27], off
	v_mul_u32_u24_sdwa v34, v29, v230 dst_sel:DWORD dst_unused:UNUSED_PAD src0_sel:WORD_0 src1_sel:DWORD
	v_mul_u32_u24_sdwa v37, v33, v230 dst_sel:DWORD dst_unused:UNUSED_PAD src0_sel:WORD_0 src1_sel:DWORD
	global_load_dword v30, v[30:31], off
	v_mul_u32_u24_sdwa v33, v33, v230 dst_sel:DWORD dst_unused:UNUSED_PAD src0_sel:WORD_1 src1_sel:DWORD
	s_waitcnt vmcnt(1)
	v_mul_u32_u24_e32 v26, 0x10001, v26
	s_waitcnt vmcnt(0)
	v_ashrrev_i32_e32 v30, v229, v30
	v_and_b32_e32 v30, 0xf0f0f0f, v30
	v_lshrrev_b32_e32 v31, 16, v30
	v_and_b32_e32 v232, 0xf00, v31
	v_lshlrev_b16 v31, 8, v31
	v_add_nc_u16 v31, 0xf800, v31
	v_or_b32_sdwa v31, v232, v31 dst_sel:DWORD dst_unused:UNUSED_PAD src0_sel:DWORD src1_sel:BYTE_1
	v_and_b32_e32 v232, 0xf00, v30
	v_lshlrev_b16 v30, 8, v30
	v_add_nc_u16 v31, 0xf800, v31
	v_add_nc_u16 v30, 0xf800, v30
	v_or_b32_sdwa v30, v232, v30 dst_sel:DWORD dst_unused:UNUSED_PAD src0_sel:DWORD src1_sel:BYTE_1
	v_mul_u32_u24_sdwa v232, v22, v230 dst_sel:DWORD dst_unused:UNUSED_PAD src0_sel:WORD_0 src1_sel:DWORD
	v_mul_u32_u24_sdwa v22, v22, v230 dst_sel:DWORD dst_unused:UNUSED_PAD src0_sel:WORD_1 src1_sel:DWORD
	v_add_nc_u16 v30, 0xf800, v30
	v_lshrrev_b32_e32 v27, 8, v30
	v_cvt_f16_i16_sdwa v30, sext(v30) dst_sel:DWORD dst_unused:UNUSED_PAD src0_sel:BYTE_0
	v_cvt_f16_i16_sdwa v27, sext(v27) dst_sel:DWORD dst_unused:UNUSED_PAD src0_sel:BYTE_0
	v_pack_b32_f16 v27, v30, v27
	v_lshrrev_b32_e32 v30, 8, v31
	v_cvt_f16_i16_sdwa v31, sext(v31) dst_sel:DWORD dst_unused:UNUSED_PAD src0_sel:BYTE_0
	v_pk_mul_f16 v27, v27, v26
	v_cvt_f16_i16_sdwa v30, sext(v30) dst_sel:DWORD dst_unused:UNUSED_PAD src0_sel:BYTE_0
	v_pack_b32_f16 v30, v31, v30
	v_pk_fma_f16 v31, v27, v37, v35
	v_mul_u32_u24_sdwa v35, v29, v230 dst_sel:DWORD dst_unused:UNUSED_PAD src0_sel:WORD_1 src1_sel:DWORD
	v_pk_mul_f16 v26, v30, v26
	v_pk_fma_f16 v30, v27, v34, v36
	v_pk_fma_f16 v34, v26, v34, v28
	;; [unrolled: 1-line block ×3, first 2 shown]
	v_add_co_u32 v26, vcc_lo, v171, s28
	v_add_co_ci_u32_e64 v27, null, 0, v172, vcc_lo
	v_add_co_u32 v28, vcc_lo, v169, s28
	v_add_co_ci_u32_e64 v29, null, 0, v170, vcc_lo
	global_load_ushort v26, v[26:27], off
	global_load_dword v28, v[28:29], off
	s_waitcnt vmcnt(1)
	v_mul_u32_u24_e32 v26, 0x10001, v26
	s_waitcnt vmcnt(0)
	v_ashrrev_i32_e32 v28, v229, v28
	v_and_b32_e32 v28, 0xf0f0f0f, v28
	v_lshrrev_b32_e32 v29, 16, v28
	v_and_b32_e32 v36, 0xf00, v29
	v_lshlrev_b16 v29, 8, v29
	v_add_nc_u16 v29, 0xf800, v29
	v_or_b32_sdwa v29, v36, v29 dst_sel:DWORD dst_unused:UNUSED_PAD src0_sel:DWORD src1_sel:BYTE_1
	v_and_b32_e32 v36, 0xf00, v28
	v_lshlrev_b16 v28, 8, v28
	v_add_nc_u16 v29, 0xf800, v29
	v_add_nc_u16 v28, 0xf800, v28
	v_or_b32_sdwa v28, v36, v28 dst_sel:DWORD dst_unused:UNUSED_PAD src0_sel:DWORD src1_sel:BYTE_1
	v_add_nc_u16 v28, 0xf800, v28
	v_lshrrev_b32_e32 v27, 8, v28
	v_cvt_f16_i16_sdwa v28, sext(v28) dst_sel:DWORD dst_unused:UNUSED_PAD src0_sel:BYTE_0
	v_cvt_f16_i16_sdwa v27, sext(v27) dst_sel:DWORD dst_unused:UNUSED_PAD src0_sel:BYTE_0
	v_pack_b32_f16 v27, v28, v27
	v_lshrrev_b32_e32 v28, 8, v29
	v_cvt_f16_i16_sdwa v29, sext(v29) dst_sel:DWORD dst_unused:UNUSED_PAD src0_sel:BYTE_0
	v_pk_mul_f16 v27, v27, v26
	v_cvt_f16_i16_sdwa v28, sext(v28) dst_sel:DWORD dst_unused:UNUSED_PAD src0_sel:BYTE_0
	v_pk_fma_f16 v36, v27, v35, v30
	v_pack_b32_f16 v28, v29, v28
	v_add_co_u32 v30, vcc_lo, v167, s28
	v_pk_fma_f16 v37, v27, v33, v31
	v_add_co_ci_u32_e64 v31, null, 0, v168, vcc_lo
	v_pk_mul_f16 v26, v28, v26
	global_load_ushort v30, v[30:31], off
	v_pk_fma_f16 v34, v26, v35, v34
	v_pk_fma_f16 v35, v26, v33, v32
	v_add_co_u32 v32, vcc_lo, v165, s28
	v_add_co_ci_u32_e64 v33, null, 0, v166, vcc_lo
	ds_read_b128 v[26:29], v88 offset:288
	global_load_dword v32, v[32:33], off
	s_waitcnt lgkmcnt(0)
	v_mul_u32_u24_sdwa v233, v26, v230 dst_sel:DWORD dst_unused:UNUSED_PAD src0_sel:WORD_0 src1_sel:DWORD
	v_mul_u32_u24_sdwa v26, v26, v230 dst_sel:DWORD dst_unused:UNUSED_PAD src0_sel:WORD_1 src1_sel:DWORD
	s_waitcnt vmcnt(1)
	v_mul_u32_u24_e32 v30, 0x10001, v30
	s_waitcnt vmcnt(0)
	v_ashrrev_i32_e32 v32, v229, v32
	v_and_b32_e32 v32, 0xf0f0f0f, v32
	v_lshrrev_b32_e32 v33, 16, v32
	v_and_b32_e32 v234, 0xf00, v33
	v_lshlrev_b16 v33, 8, v33
	v_add_nc_u16 v33, 0xf800, v33
	v_or_b32_sdwa v33, v234, v33 dst_sel:DWORD dst_unused:UNUSED_PAD src0_sel:DWORD src1_sel:BYTE_1
	v_and_b32_e32 v234, 0xf00, v32
	v_lshlrev_b16 v32, 8, v32
	v_add_nc_u16 v33, 0xf800, v33
	v_add_nc_u16 v32, 0xf800, v32
	v_or_b32_sdwa v32, v234, v32 dst_sel:DWORD dst_unused:UNUSED_PAD src0_sel:DWORD src1_sel:BYTE_1
	v_add_nc_u16 v32, 0xf800, v32
	v_lshrrev_b32_e32 v31, 8, v32
	v_cvt_f16_i16_sdwa v32, sext(v32) dst_sel:DWORD dst_unused:UNUSED_PAD src0_sel:BYTE_0
	v_cvt_f16_i16_sdwa v31, sext(v31) dst_sel:DWORD dst_unused:UNUSED_PAD src0_sel:BYTE_0
	v_pack_b32_f16 v31, v32, v31
	v_lshrrev_b32_e32 v32, 8, v33
	v_cvt_f16_i16_sdwa v33, sext(v33) dst_sel:DWORD dst_unused:UNUSED_PAD src0_sel:BYTE_0
	v_pk_mul_f16 v31, v31, v30
	v_cvt_f16_i16_sdwa v32, sext(v32) dst_sel:DWORD dst_unused:UNUSED_PAD src0_sel:BYTE_0
	v_pk_fma_f16 v36, v31, v232, v36
	v_pack_b32_f16 v32, v33, v32
	v_pk_fma_f16 v37, v31, v233, v37
	v_pk_mul_f16 v30, v32, v30
	v_pk_fma_f16 v34, v30, v232, v34
	v_pk_fma_f16 v35, v30, v233, v35
	v_add_co_u32 v30, vcc_lo, v163, s28
	v_add_co_ci_u32_e64 v31, null, 0, v164, vcc_lo
	v_add_co_u32 v32, vcc_lo, v161, s28
	v_add_co_ci_u32_e64 v33, null, 0, v162, vcc_lo
	global_load_ushort v30, v[30:31], off
	global_load_dword v32, v[32:33], off
	s_waitcnt vmcnt(1)
	v_mul_u32_u24_e32 v30, 0x10001, v30
	s_waitcnt vmcnt(0)
	v_ashrrev_i32_e32 v32, v229, v32
	v_and_b32_e32 v32, 0xf0f0f0f, v32
	v_lshrrev_b32_e32 v33, 16, v32
	v_and_b32_e32 v232, 0xf00, v33
	v_lshlrev_b16 v33, 8, v33
	v_add_nc_u16 v33, 0xf800, v33
	v_or_b32_sdwa v33, v232, v33 dst_sel:DWORD dst_unused:UNUSED_PAD src0_sel:DWORD src1_sel:BYTE_1
	v_and_b32_e32 v232, 0xf00, v32
	v_lshlrev_b16 v32, 8, v32
	v_add_nc_u16 v33, 0xf800, v33
	v_add_nc_u16 v32, 0xf800, v32
	v_or_b32_sdwa v32, v232, v32 dst_sel:DWORD dst_unused:UNUSED_PAD src0_sel:DWORD src1_sel:BYTE_1
	v_add_nc_u16 v32, 0xf800, v32
	v_lshrrev_b32_e32 v31, 8, v32
	v_cvt_f16_i16_sdwa v32, sext(v32) dst_sel:DWORD dst_unused:UNUSED_PAD src0_sel:BYTE_0
	v_cvt_f16_i16_sdwa v31, sext(v31) dst_sel:DWORD dst_unused:UNUSED_PAD src0_sel:BYTE_0
	v_pack_b32_f16 v31, v32, v31
	v_lshrrev_b32_e32 v32, 8, v33
	v_cvt_f16_i16_sdwa v33, sext(v33) dst_sel:DWORD dst_unused:UNUSED_PAD src0_sel:BYTE_0
	v_pk_mul_f16 v31, v31, v30
	v_cvt_f16_i16_sdwa v32, sext(v32) dst_sel:DWORD dst_unused:UNUSED_PAD src0_sel:BYTE_0
	v_pk_fma_f16 v36, v31, v22, v36
	v_pack_b32_f16 v32, v33, v32
	v_pk_fma_f16 v37, v31, v26, v37
	v_pk_mul_f16 v30, v32, v30
	v_pk_fma_f16 v22, v30, v22, v34
	v_pk_fma_f16 v26, v30, v26, v35
	v_add_co_u32 v30, vcc_lo, v159, s28
	v_add_co_ci_u32_e64 v31, null, 0, v160, vcc_lo
	v_add_co_u32 v32, vcc_lo, v157, s28
	v_add_co_ci_u32_e64 v33, null, 0, v158, vcc_lo
	global_load_ushort v30, v[30:31], off
	v_mul_u32_u24_sdwa v34, v23, v230 dst_sel:DWORD dst_unused:UNUSED_PAD src0_sel:WORD_0 src1_sel:DWORD
	v_mul_u32_u24_sdwa v35, v27, v230 dst_sel:DWORD dst_unused:UNUSED_PAD src0_sel:WORD_0 src1_sel:DWORD
	global_load_dword v32, v[32:33], off
	s_waitcnt vmcnt(1)
	v_mul_u32_u24_e32 v30, 0x10001, v30
	s_waitcnt vmcnt(0)
	v_ashrrev_i32_e32 v32, v229, v32
	v_and_b32_e32 v32, 0xf0f0f0f, v32
	v_lshrrev_b32_e32 v33, 16, v32
	v_and_b32_e32 v232, 0xf00, v33
	v_lshlrev_b16 v33, 8, v33
	v_add_nc_u16 v33, 0xf800, v33
	v_or_b32_sdwa v33, v232, v33 dst_sel:DWORD dst_unused:UNUSED_PAD src0_sel:DWORD src1_sel:BYTE_1
	v_and_b32_e32 v232, 0xf00, v32
	v_lshlrev_b16 v32, 8, v32
	v_add_nc_u16 v33, 0xf800, v33
	v_add_nc_u16 v32, 0xf800, v32
	v_or_b32_sdwa v32, v232, v32 dst_sel:DWORD dst_unused:UNUSED_PAD src0_sel:DWORD src1_sel:BYTE_1
	v_add_nc_u16 v32, 0xf800, v32
	v_lshrrev_b32_e32 v31, 8, v32
	v_cvt_f16_i16_sdwa v32, sext(v32) dst_sel:DWORD dst_unused:UNUSED_PAD src0_sel:BYTE_0
	v_cvt_f16_i16_sdwa v31, sext(v31) dst_sel:DWORD dst_unused:UNUSED_PAD src0_sel:BYTE_0
	v_pack_b32_f16 v31, v32, v31
	v_lshrrev_b32_e32 v32, 8, v33
	v_cvt_f16_i16_sdwa v33, sext(v33) dst_sel:DWORD dst_unused:UNUSED_PAD src0_sel:BYTE_0
	v_pk_mul_f16 v31, v31, v30
	v_cvt_f16_i16_sdwa v32, sext(v32) dst_sel:DWORD dst_unused:UNUSED_PAD src0_sel:BYTE_0
	v_pack_b32_f16 v32, v33, v32
	v_pk_mul_f16 v30, v32, v30
	v_pk_fma_f16 v32, v31, v34, v36
	v_pk_fma_f16 v31, v31, v35, v37
	v_pk_fma_f16 v33, v30, v34, v22
	v_add_co_u32 v22, vcc_lo, v155, s28
	v_pk_fma_f16 v30, v30, v35, v26
	v_mul_u32_u24_sdwa v34, v23, v230 dst_sel:DWORD dst_unused:UNUSED_PAD src0_sel:WORD_1 src1_sel:DWORD
	v_add_co_ci_u32_e64 v23, null, 0, v156, vcc_lo
	v_add_co_u32 v26, vcc_lo, v153, s28
	v_mul_u32_u24_sdwa v35, v27, v230 dst_sel:DWORD dst_unused:UNUSED_PAD src0_sel:WORD_1 src1_sel:DWORD
	v_add_co_ci_u32_e64 v27, null, 0, v154, vcc_lo
	global_load_ushort v22, v[22:23], off
	global_load_dword v26, v[26:27], off
	s_waitcnt vmcnt(1)
	v_mul_u32_u24_e32 v22, 0x10001, v22
	s_waitcnt vmcnt(0)
	v_ashrrev_i32_e32 v26, v229, v26
	v_and_b32_e32 v26, 0xf0f0f0f, v26
	v_lshrrev_b32_e32 v27, 16, v26
	v_and_b32_e32 v36, 0xf00, v27
	v_lshlrev_b16 v27, 8, v27
	v_add_nc_u16 v27, 0xf800, v27
	v_or_b32_sdwa v27, v36, v27 dst_sel:DWORD dst_unused:UNUSED_PAD src0_sel:DWORD src1_sel:BYTE_1
	v_and_b32_e32 v36, 0xf00, v26
	v_lshlrev_b16 v26, 8, v26
	v_add_nc_u16 v27, 0xf800, v27
	v_add_nc_u16 v26, 0xf800, v26
	v_or_b32_sdwa v26, v36, v26 dst_sel:DWORD dst_unused:UNUSED_PAD src0_sel:DWORD src1_sel:BYTE_1
	v_add_nc_u16 v26, 0xf800, v26
	v_lshrrev_b32_e32 v23, 8, v26
	v_cvt_f16_i16_sdwa v26, sext(v26) dst_sel:DWORD dst_unused:UNUSED_PAD src0_sel:BYTE_0
	v_cvt_f16_i16_sdwa v23, sext(v23) dst_sel:DWORD dst_unused:UNUSED_PAD src0_sel:BYTE_0
	v_pack_b32_f16 v23, v26, v23
	v_lshrrev_b32_e32 v26, 8, v27
	v_cvt_f16_i16_sdwa v27, sext(v27) dst_sel:DWORD dst_unused:UNUSED_PAD src0_sel:BYTE_0
	v_pk_mul_f16 v23, v23, v22
	v_cvt_f16_i16_sdwa v26, sext(v26) dst_sel:DWORD dst_unused:UNUSED_PAD src0_sel:BYTE_0
	v_pk_fma_f16 v32, v23, v34, v32
	v_pack_b32_f16 v26, v27, v26
	v_pk_fma_f16 v31, v23, v35, v31
	v_pk_mul_f16 v22, v26, v22
	v_pk_fma_f16 v33, v22, v34, v33
	v_pk_fma_f16 v30, v22, v35, v30
	v_add_co_u32 v22, vcc_lo, v151, s28
	v_add_co_ci_u32_e64 v23, null, 0, v152, vcc_lo
	v_add_co_u32 v26, vcc_lo, v149, s28
	v_add_co_ci_u32_e64 v27, null, 0, v150, vcc_lo
	global_load_ushort v22, v[22:23], off
	v_mul_u32_u24_sdwa v34, v24, v230 dst_sel:DWORD dst_unused:UNUSED_PAD src0_sel:WORD_0 src1_sel:DWORD
	v_mul_u32_u24_sdwa v35, v28, v230 dst_sel:DWORD dst_unused:UNUSED_PAD src0_sel:WORD_0 src1_sel:DWORD
	global_load_dword v26, v[26:27], off
	v_mul_u32_u24_sdwa v24, v24, v230 dst_sel:DWORD dst_unused:UNUSED_PAD src0_sel:WORD_1 src1_sel:DWORD
	v_mul_u32_u24_sdwa v28, v28, v230 dst_sel:DWORD dst_unused:UNUSED_PAD src0_sel:WORD_1 src1_sel:DWORD
	s_waitcnt vmcnt(1)
	v_mul_u32_u24_e32 v22, 0x10001, v22
	s_waitcnt vmcnt(0)
	v_ashrrev_i32_e32 v26, v229, v26
	v_and_b32_e32 v26, 0xf0f0f0f, v26
	v_lshrrev_b32_e32 v27, 16, v26
	v_and_b32_e32 v36, 0xf00, v27
	v_lshlrev_b16 v27, 8, v27
	v_add_nc_u16 v27, 0xf800, v27
	v_or_b32_sdwa v27, v36, v27 dst_sel:DWORD dst_unused:UNUSED_PAD src0_sel:DWORD src1_sel:BYTE_1
	v_and_b32_e32 v36, 0xf00, v26
	v_lshlrev_b16 v26, 8, v26
	v_add_nc_u16 v27, 0xf800, v27
	v_add_nc_u16 v26, 0xf800, v26
	v_or_b32_sdwa v26, v36, v26 dst_sel:DWORD dst_unused:UNUSED_PAD src0_sel:DWORD src1_sel:BYTE_1
	v_add_nc_u16 v26, 0xf800, v26
	v_lshrrev_b32_e32 v23, 8, v26
	v_cvt_f16_i16_sdwa v26, sext(v26) dst_sel:DWORD dst_unused:UNUSED_PAD src0_sel:BYTE_0
	v_cvt_f16_i16_sdwa v23, sext(v23) dst_sel:DWORD dst_unused:UNUSED_PAD src0_sel:BYTE_0
	v_pack_b32_f16 v23, v26, v23
	v_lshrrev_b32_e32 v26, 8, v27
	v_cvt_f16_i16_sdwa v27, sext(v27) dst_sel:DWORD dst_unused:UNUSED_PAD src0_sel:BYTE_0
	v_pk_mul_f16 v23, v23, v22
	v_cvt_f16_i16_sdwa v26, sext(v26) dst_sel:DWORD dst_unused:UNUSED_PAD src0_sel:BYTE_0
	v_pk_fma_f16 v32, v23, v34, v32
	v_pack_b32_f16 v26, v27, v26
	v_pk_fma_f16 v31, v23, v35, v31
	v_pk_mul_f16 v22, v26, v22
	v_pk_fma_f16 v33, v22, v34, v33
	v_pk_fma_f16 v30, v22, v35, v30
	v_add_co_u32 v22, vcc_lo, v147, s28
	v_add_co_ci_u32_e64 v23, null, 0, v148, vcc_lo
	v_add_co_u32 v26, vcc_lo, v145, s28
	v_add_co_ci_u32_e64 v27, null, 0, v146, vcc_lo
	global_load_ushort v22, v[22:23], off
	global_load_dword v26, v[26:27], off
	s_waitcnt vmcnt(1)
	v_mul_u32_u24_e32 v22, 0x10001, v22
	s_waitcnt vmcnt(0)
	v_ashrrev_i32_e32 v26, v229, v26
	v_and_b32_e32 v26, 0xf0f0f0f, v26
	v_lshrrev_b32_e32 v27, 16, v26
	v_and_b32_e32 v34, 0xf00, v27
	v_lshlrev_b16 v27, 8, v27
	v_add_nc_u16 v27, 0xf800, v27
	v_or_b32_sdwa v27, v34, v27 dst_sel:DWORD dst_unused:UNUSED_PAD src0_sel:DWORD src1_sel:BYTE_1
	v_and_b32_e32 v34, 0xf00, v26
	v_lshlrev_b16 v26, 8, v26
	v_add_nc_u16 v27, 0xf800, v27
	v_add_nc_u16 v26, 0xf800, v26
	v_or_b32_sdwa v26, v34, v26 dst_sel:DWORD dst_unused:UNUSED_PAD src0_sel:DWORD src1_sel:BYTE_1
	v_add_nc_u16 v26, 0xf800, v26
	v_lshrrev_b32_e32 v23, 8, v26
	v_cvt_f16_i16_sdwa v26, sext(v26) dst_sel:DWORD dst_unused:UNUSED_PAD src0_sel:BYTE_0
	v_cvt_f16_i16_sdwa v23, sext(v23) dst_sel:DWORD dst_unused:UNUSED_PAD src0_sel:BYTE_0
	v_pack_b32_f16 v23, v26, v23
	v_lshrrev_b32_e32 v26, 8, v27
	v_cvt_f16_i16_sdwa v27, sext(v27) dst_sel:DWORD dst_unused:UNUSED_PAD src0_sel:BYTE_0
	v_pk_mul_f16 v23, v23, v22
	v_cvt_f16_i16_sdwa v26, sext(v26) dst_sel:DWORD dst_unused:UNUSED_PAD src0_sel:BYTE_0
	v_pk_fma_f16 v32, v23, v24, v32
	v_pack_b32_f16 v26, v27, v26
	v_pk_fma_f16 v31, v23, v28, v31
	v_pk_mul_f16 v22, v26, v22
	v_pk_fma_f16 v24, v22, v24, v33
	v_pk_fma_f16 v28, v22, v28, v30
	v_add_co_u32 v22, vcc_lo, v143, s28
	v_add_co_ci_u32_e64 v23, null, 0, v144, vcc_lo
	v_add_co_u32 v26, vcc_lo, v141, s28
	v_add_co_ci_u32_e64 v27, null, 0, v142, vcc_lo
	global_load_ushort v22, v[22:23], off
	v_mul_u32_u24_sdwa v30, v25, v230 dst_sel:DWORD dst_unused:UNUSED_PAD src0_sel:WORD_0 src1_sel:DWORD
	v_mul_u32_u24_sdwa v33, v29, v230 dst_sel:DWORD dst_unused:UNUSED_PAD src0_sel:WORD_0 src1_sel:DWORD
	global_load_dword v26, v[26:27], off
	v_mul_u32_u24_sdwa v29, v29, v230 dst_sel:DWORD dst_unused:UNUSED_PAD src0_sel:WORD_1 src1_sel:DWORD
	s_waitcnt vmcnt(1)
	v_mul_u32_u24_e32 v22, 0x10001, v22
	s_waitcnt vmcnt(0)
	v_ashrrev_i32_e32 v26, v229, v26
	v_and_b32_e32 v26, 0xf0f0f0f, v26
	v_lshrrev_b32_e32 v27, 16, v26
	v_and_b32_e32 v34, 0xf00, v27
	v_lshlrev_b16 v27, 8, v27
	v_add_nc_u16 v27, 0xf800, v27
	v_or_b32_sdwa v27, v34, v27 dst_sel:DWORD dst_unused:UNUSED_PAD src0_sel:DWORD src1_sel:BYTE_1
	v_and_b32_e32 v34, 0xf00, v26
	v_lshlrev_b16 v26, 8, v26
	v_add_nc_u16 v27, 0xf800, v27
	v_add_nc_u16 v26, 0xf800, v26
	v_or_b32_sdwa v26, v34, v26 dst_sel:DWORD dst_unused:UNUSED_PAD src0_sel:DWORD src1_sel:BYTE_1
	v_mul_u32_u24_sdwa v34, v18, v230 dst_sel:DWORD dst_unused:UNUSED_PAD src0_sel:WORD_0 src1_sel:DWORD
	v_mul_u32_u24_sdwa v18, v18, v230 dst_sel:DWORD dst_unused:UNUSED_PAD src0_sel:WORD_1 src1_sel:DWORD
	v_add_nc_u16 v26, 0xf800, v26
	v_lshrrev_b32_e32 v23, 8, v26
	v_cvt_f16_i16_sdwa v26, sext(v26) dst_sel:DWORD dst_unused:UNUSED_PAD src0_sel:BYTE_0
	v_cvt_f16_i16_sdwa v23, sext(v23) dst_sel:DWORD dst_unused:UNUSED_PAD src0_sel:BYTE_0
	v_pack_b32_f16 v23, v26, v23
	v_lshrrev_b32_e32 v26, 8, v27
	v_cvt_f16_i16_sdwa v27, sext(v27) dst_sel:DWORD dst_unused:UNUSED_PAD src0_sel:BYTE_0
	v_pk_mul_f16 v23, v23, v22
	v_cvt_f16_i16_sdwa v26, sext(v26) dst_sel:DWORD dst_unused:UNUSED_PAD src0_sel:BYTE_0
	v_pack_b32_f16 v26, v27, v26
	v_pk_fma_f16 v27, v23, v33, v31
	v_mul_u32_u24_sdwa v31, v25, v230 dst_sel:DWORD dst_unused:UNUSED_PAD src0_sel:WORD_1 src1_sel:DWORD
	v_pk_mul_f16 v22, v26, v22
	v_pk_fma_f16 v26, v23, v30, v32
	v_pk_fma_f16 v30, v22, v30, v24
	v_pk_fma_f16 v28, v22, v33, v28
	v_add_co_u32 v22, vcc_lo, v139, s28
	v_add_co_ci_u32_e64 v23, null, 0, v140, vcc_lo
	v_add_co_u32 v24, vcc_lo, v137, s28
	v_add_co_ci_u32_e64 v25, null, 0, v138, vcc_lo
	global_load_ushort v22, v[22:23], off
	global_load_dword v24, v[24:25], off
	s_waitcnt vmcnt(1)
	v_mul_u32_u24_e32 v22, 0x10001, v22
	s_waitcnt vmcnt(0)
	v_ashrrev_i32_e32 v24, v229, v24
	v_and_b32_e32 v24, 0xf0f0f0f, v24
	v_lshrrev_b32_e32 v25, 16, v24
	v_and_b32_e32 v32, 0xf00, v25
	v_lshlrev_b16 v25, 8, v25
	v_add_nc_u16 v25, 0xf800, v25
	v_or_b32_sdwa v25, v32, v25 dst_sel:DWORD dst_unused:UNUSED_PAD src0_sel:DWORD src1_sel:BYTE_1
	v_and_b32_e32 v32, 0xf00, v24
	v_lshlrev_b16 v24, 8, v24
	v_add_nc_u16 v25, 0xf800, v25
	v_add_nc_u16 v24, 0xf800, v24
	v_or_b32_sdwa v24, v32, v24 dst_sel:DWORD dst_unused:UNUSED_PAD src0_sel:DWORD src1_sel:BYTE_1
	v_add_nc_u16 v24, 0xf800, v24
	v_lshrrev_b32_e32 v23, 8, v24
	v_cvt_f16_i16_sdwa v24, sext(v24) dst_sel:DWORD dst_unused:UNUSED_PAD src0_sel:BYTE_0
	v_cvt_f16_i16_sdwa v23, sext(v23) dst_sel:DWORD dst_unused:UNUSED_PAD src0_sel:BYTE_0
	v_pack_b32_f16 v23, v24, v23
	v_lshrrev_b32_e32 v24, 8, v25
	v_cvt_f16_i16_sdwa v25, sext(v25) dst_sel:DWORD dst_unused:UNUSED_PAD src0_sel:BYTE_0
	v_pk_mul_f16 v23, v23, v22
	v_cvt_f16_i16_sdwa v24, sext(v24) dst_sel:DWORD dst_unused:UNUSED_PAD src0_sel:BYTE_0
	v_pk_fma_f16 v32, v23, v31, v26
	v_pack_b32_f16 v24, v25, v24
	v_add_co_u32 v26, vcc_lo, v135, s28
	v_pk_fma_f16 v33, v23, v29, v27
	v_add_co_ci_u32_e64 v27, null, 0, v136, vcc_lo
	v_pk_mul_f16 v22, v24, v22
	global_load_ushort v26, v[26:27], off
	v_pk_fma_f16 v30, v22, v31, v30
	v_pk_fma_f16 v31, v22, v29, v28
	v_add_co_u32 v28, vcc_lo, v133, s28
	v_add_co_ci_u32_e64 v29, null, 0, v134, vcc_lo
	ds_read_b128 v[22:25], v88 offset:304
	global_load_dword v28, v[28:29], off
	s_waitcnt lgkmcnt(0)
	v_mul_u32_u24_sdwa v35, v22, v230 dst_sel:DWORD dst_unused:UNUSED_PAD src0_sel:WORD_0 src1_sel:DWORD
	v_mul_u32_u24_sdwa v22, v22, v230 dst_sel:DWORD dst_unused:UNUSED_PAD src0_sel:WORD_1 src1_sel:DWORD
	s_waitcnt vmcnt(1)
	v_mul_u32_u24_e32 v26, 0x10001, v26
	s_waitcnt vmcnt(0)
	v_ashrrev_i32_e32 v28, v229, v28
	v_and_b32_e32 v28, 0xf0f0f0f, v28
	v_lshrrev_b32_e32 v29, 16, v28
	v_and_b32_e32 v36, 0xf00, v29
	v_lshlrev_b16 v29, 8, v29
	v_add_nc_u16 v29, 0xf800, v29
	v_or_b32_sdwa v29, v36, v29 dst_sel:DWORD dst_unused:UNUSED_PAD src0_sel:DWORD src1_sel:BYTE_1
	v_and_b32_e32 v36, 0xf00, v28
	v_lshlrev_b16 v28, 8, v28
	v_add_nc_u16 v29, 0xf800, v29
	v_add_nc_u16 v28, 0xf800, v28
	v_or_b32_sdwa v28, v36, v28 dst_sel:DWORD dst_unused:UNUSED_PAD src0_sel:DWORD src1_sel:BYTE_1
	v_add_nc_u16 v28, 0xf800, v28
	v_lshrrev_b32_e32 v27, 8, v28
	v_cvt_f16_i16_sdwa v28, sext(v28) dst_sel:DWORD dst_unused:UNUSED_PAD src0_sel:BYTE_0
	v_cvt_f16_i16_sdwa v27, sext(v27) dst_sel:DWORD dst_unused:UNUSED_PAD src0_sel:BYTE_0
	v_pack_b32_f16 v27, v28, v27
	v_lshrrev_b32_e32 v28, 8, v29
	v_cvt_f16_i16_sdwa v29, sext(v29) dst_sel:DWORD dst_unused:UNUSED_PAD src0_sel:BYTE_0
	v_pk_mul_f16 v27, v27, v26
	v_cvt_f16_i16_sdwa v28, sext(v28) dst_sel:DWORD dst_unused:UNUSED_PAD src0_sel:BYTE_0
	v_pk_fma_f16 v32, v27, v34, v32
	v_pack_b32_f16 v28, v29, v28
	v_pk_fma_f16 v33, v27, v35, v33
	v_pk_mul_f16 v26, v28, v26
	v_pk_fma_f16 v30, v26, v34, v30
	v_pk_fma_f16 v31, v26, v35, v31
	v_add_co_u32 v26, vcc_lo, v131, s28
	v_add_co_ci_u32_e64 v27, null, 0, v132, vcc_lo
	v_add_co_u32 v28, vcc_lo, v129, s28
	v_add_co_ci_u32_e64 v29, null, 0, v130, vcc_lo
	global_load_ushort v26, v[26:27], off
	global_load_dword v28, v[28:29], off
	s_waitcnt vmcnt(1)
	v_mul_u32_u24_e32 v26, 0x10001, v26
	s_waitcnt vmcnt(0)
	v_ashrrev_i32_e32 v28, v229, v28
	v_and_b32_e32 v28, 0xf0f0f0f, v28
	v_lshrrev_b32_e32 v29, 16, v28
	v_and_b32_e32 v34, 0xf00, v29
	v_lshlrev_b16 v29, 8, v29
	v_add_nc_u16 v29, 0xf800, v29
	v_or_b32_sdwa v29, v34, v29 dst_sel:DWORD dst_unused:UNUSED_PAD src0_sel:DWORD src1_sel:BYTE_1
	v_and_b32_e32 v34, 0xf00, v28
	v_lshlrev_b16 v28, 8, v28
	v_add_nc_u16 v29, 0xf800, v29
	v_add_nc_u16 v28, 0xf800, v28
	v_or_b32_sdwa v28, v34, v28 dst_sel:DWORD dst_unused:UNUSED_PAD src0_sel:DWORD src1_sel:BYTE_1
	v_add_nc_u16 v28, 0xf800, v28
	v_lshrrev_b32_e32 v27, 8, v28
	v_cvt_f16_i16_sdwa v28, sext(v28) dst_sel:DWORD dst_unused:UNUSED_PAD src0_sel:BYTE_0
	v_cvt_f16_i16_sdwa v27, sext(v27) dst_sel:DWORD dst_unused:UNUSED_PAD src0_sel:BYTE_0
	v_pack_b32_f16 v27, v28, v27
	v_lshrrev_b32_e32 v28, 8, v29
	v_cvt_f16_i16_sdwa v29, sext(v29) dst_sel:DWORD dst_unused:UNUSED_PAD src0_sel:BYTE_0
	v_pk_mul_f16 v27, v27, v26
	v_cvt_f16_i16_sdwa v28, sext(v28) dst_sel:DWORD dst_unused:UNUSED_PAD src0_sel:BYTE_0
	v_pk_fma_f16 v32, v27, v18, v32
	v_pack_b32_f16 v28, v29, v28
	v_pk_fma_f16 v33, v27, v22, v33
	v_pk_mul_f16 v26, v28, v26
	v_pk_fma_f16 v18, v26, v18, v30
	v_pk_fma_f16 v22, v26, v22, v31
	v_add_co_u32 v26, vcc_lo, v127, s28
	v_add_co_ci_u32_e64 v27, null, 0, v128, vcc_lo
	v_add_co_u32 v28, vcc_lo, v125, s28
	v_add_co_ci_u32_e64 v29, null, 0, v126, vcc_lo
	global_load_ushort v26, v[26:27], off
	v_mul_u32_u24_sdwa v30, v19, v230 dst_sel:DWORD dst_unused:UNUSED_PAD src0_sel:WORD_0 src1_sel:DWORD
	v_mul_u32_u24_sdwa v31, v23, v230 dst_sel:DWORD dst_unused:UNUSED_PAD src0_sel:WORD_0 src1_sel:DWORD
	global_load_dword v28, v[28:29], off
	s_waitcnt vmcnt(1)
	v_mul_u32_u24_e32 v26, 0x10001, v26
	s_waitcnt vmcnt(0)
	v_ashrrev_i32_e32 v28, v229, v28
	v_and_b32_e32 v28, 0xf0f0f0f, v28
	v_lshrrev_b32_e32 v29, 16, v28
	v_and_b32_e32 v34, 0xf00, v29
	v_lshlrev_b16 v29, 8, v29
	v_add_nc_u16 v29, 0xf800, v29
	v_or_b32_sdwa v29, v34, v29 dst_sel:DWORD dst_unused:UNUSED_PAD src0_sel:DWORD src1_sel:BYTE_1
	v_and_b32_e32 v34, 0xf00, v28
	v_lshlrev_b16 v28, 8, v28
	v_add_nc_u16 v29, 0xf800, v29
	v_add_nc_u16 v28, 0xf800, v28
	v_or_b32_sdwa v28, v34, v28 dst_sel:DWORD dst_unused:UNUSED_PAD src0_sel:DWORD src1_sel:BYTE_1
	v_add_nc_u16 v28, 0xf800, v28
	v_lshrrev_b32_e32 v27, 8, v28
	v_cvt_f16_i16_sdwa v28, sext(v28) dst_sel:DWORD dst_unused:UNUSED_PAD src0_sel:BYTE_0
	v_cvt_f16_i16_sdwa v27, sext(v27) dst_sel:DWORD dst_unused:UNUSED_PAD src0_sel:BYTE_0
	v_pack_b32_f16 v27, v28, v27
	v_lshrrev_b32_e32 v28, 8, v29
	v_cvt_f16_i16_sdwa v29, sext(v29) dst_sel:DWORD dst_unused:UNUSED_PAD src0_sel:BYTE_0
	v_pk_mul_f16 v27, v27, v26
	v_cvt_f16_i16_sdwa v28, sext(v28) dst_sel:DWORD dst_unused:UNUSED_PAD src0_sel:BYTE_0
	v_pack_b32_f16 v28, v29, v28
	v_pk_mul_f16 v26, v28, v26
	v_pk_fma_f16 v28, v27, v30, v32
	v_pk_fma_f16 v27, v27, v31, v33
	;; [unrolled: 1-line block ×3, first 2 shown]
	v_add_co_u32 v18, vcc_lo, v123, s28
	v_pk_fma_f16 v26, v26, v31, v22
	v_mul_u32_u24_sdwa v30, v19, v230 dst_sel:DWORD dst_unused:UNUSED_PAD src0_sel:WORD_1 src1_sel:DWORD
	v_add_co_ci_u32_e64 v19, null, 0, v124, vcc_lo
	v_add_co_u32 v22, vcc_lo, v121, s28
	v_mul_u32_u24_sdwa v31, v23, v230 dst_sel:DWORD dst_unused:UNUSED_PAD src0_sel:WORD_1 src1_sel:DWORD
	v_add_co_ci_u32_e64 v23, null, 0, v122, vcc_lo
	global_load_ushort v18, v[18:19], off
	global_load_dword v22, v[22:23], off
	s_waitcnt vmcnt(1)
	v_mul_u32_u24_e32 v18, 0x10001, v18
	s_waitcnt vmcnt(0)
	v_ashrrev_i32_e32 v22, v229, v22
	v_and_b32_e32 v22, 0xf0f0f0f, v22
	v_lshrrev_b32_e32 v23, 16, v22
	v_and_b32_e32 v32, 0xf00, v23
	v_lshlrev_b16 v23, 8, v23
	v_add_nc_u16 v23, 0xf800, v23
	v_or_b32_sdwa v23, v32, v23 dst_sel:DWORD dst_unused:UNUSED_PAD src0_sel:DWORD src1_sel:BYTE_1
	v_and_b32_e32 v32, 0xf00, v22
	v_lshlrev_b16 v22, 8, v22
	v_add_nc_u16 v23, 0xf800, v23
	v_add_nc_u16 v22, 0xf800, v22
	v_or_b32_sdwa v22, v32, v22 dst_sel:DWORD dst_unused:UNUSED_PAD src0_sel:DWORD src1_sel:BYTE_1
	v_add_nc_u16 v22, 0xf800, v22
	v_lshrrev_b32_e32 v19, 8, v22
	v_cvt_f16_i16_sdwa v22, sext(v22) dst_sel:DWORD dst_unused:UNUSED_PAD src0_sel:BYTE_0
	v_cvt_f16_i16_sdwa v19, sext(v19) dst_sel:DWORD dst_unused:UNUSED_PAD src0_sel:BYTE_0
	v_pack_b32_f16 v19, v22, v19
	v_lshrrev_b32_e32 v22, 8, v23
	v_cvt_f16_i16_sdwa v23, sext(v23) dst_sel:DWORD dst_unused:UNUSED_PAD src0_sel:BYTE_0
	v_pk_mul_f16 v19, v19, v18
	v_cvt_f16_i16_sdwa v22, sext(v22) dst_sel:DWORD dst_unused:UNUSED_PAD src0_sel:BYTE_0
	v_pk_fma_f16 v28, v19, v30, v28
	v_pack_b32_f16 v22, v23, v22
	v_pk_fma_f16 v27, v19, v31, v27
	v_pk_mul_f16 v18, v22, v18
	v_pk_fma_f16 v29, v18, v30, v29
	v_pk_fma_f16 v26, v18, v31, v26
	v_add_co_u32 v18, vcc_lo, v119, s28
	v_add_co_ci_u32_e64 v19, null, 0, v120, vcc_lo
	v_add_co_u32 v22, vcc_lo, v117, s28
	v_add_co_ci_u32_e64 v23, null, 0, v118, vcc_lo
	global_load_ushort v18, v[18:19], off
	v_mul_u32_u24_sdwa v30, v20, v230 dst_sel:DWORD dst_unused:UNUSED_PAD src0_sel:WORD_0 src1_sel:DWORD
	v_mul_u32_u24_sdwa v31, v24, v230 dst_sel:DWORD dst_unused:UNUSED_PAD src0_sel:WORD_0 src1_sel:DWORD
	global_load_dword v22, v[22:23], off
	v_mul_u32_u24_sdwa v20, v20, v230 dst_sel:DWORD dst_unused:UNUSED_PAD src0_sel:WORD_1 src1_sel:DWORD
	v_mul_u32_u24_sdwa v24, v24, v230 dst_sel:DWORD dst_unused:UNUSED_PAD src0_sel:WORD_1 src1_sel:DWORD
	s_waitcnt vmcnt(1)
	v_mul_u32_u24_e32 v18, 0x10001, v18
	s_waitcnt vmcnt(0)
	v_ashrrev_i32_e32 v22, v229, v22
	v_and_b32_e32 v22, 0xf0f0f0f, v22
	v_lshrrev_b32_e32 v23, 16, v22
	v_and_b32_e32 v32, 0xf00, v23
	v_lshlrev_b16 v23, 8, v23
	v_add_nc_u16 v23, 0xf800, v23
	v_or_b32_sdwa v23, v32, v23 dst_sel:DWORD dst_unused:UNUSED_PAD src0_sel:DWORD src1_sel:BYTE_1
	v_and_b32_e32 v32, 0xf00, v22
	v_lshlrev_b16 v22, 8, v22
	v_add_nc_u16 v23, 0xf800, v23
	v_add_nc_u16 v22, 0xf800, v22
	v_or_b32_sdwa v22, v32, v22 dst_sel:DWORD dst_unused:UNUSED_PAD src0_sel:DWORD src1_sel:BYTE_1
	v_add_nc_u16 v22, 0xf800, v22
	v_lshrrev_b32_e32 v19, 8, v22
	v_cvt_f16_i16_sdwa v22, sext(v22) dst_sel:DWORD dst_unused:UNUSED_PAD src0_sel:BYTE_0
	v_cvt_f16_i16_sdwa v19, sext(v19) dst_sel:DWORD dst_unused:UNUSED_PAD src0_sel:BYTE_0
	v_pack_b32_f16 v19, v22, v19
	v_lshrrev_b32_e32 v22, 8, v23
	v_cvt_f16_i16_sdwa v23, sext(v23) dst_sel:DWORD dst_unused:UNUSED_PAD src0_sel:BYTE_0
	v_pk_mul_f16 v19, v19, v18
	v_cvt_f16_i16_sdwa v22, sext(v22) dst_sel:DWORD dst_unused:UNUSED_PAD src0_sel:BYTE_0
	v_pk_fma_f16 v28, v19, v30, v28
	v_pack_b32_f16 v22, v23, v22
	v_pk_fma_f16 v27, v19, v31, v27
	v_pk_mul_f16 v18, v22, v18
	v_pk_fma_f16 v29, v18, v30, v29
	v_pk_fma_f16 v26, v18, v31, v26
	v_add_co_u32 v18, vcc_lo, v115, s28
	v_add_co_ci_u32_e64 v19, null, 0, v116, vcc_lo
	v_add_co_u32 v22, vcc_lo, v113, s28
	v_add_co_ci_u32_e64 v23, null, 0, v114, vcc_lo
	global_load_ushort v18, v[18:19], off
	v_mul_u32_u24_sdwa v31, v25, v230 dst_sel:DWORD dst_unused:UNUSED_PAD src0_sel:WORD_0 src1_sel:DWORD
	v_mul_u32_u24_sdwa v25, v25, v230 dst_sel:DWORD dst_unused:UNUSED_PAD src0_sel:WORD_1 src1_sel:DWORD
	global_load_dword v22, v[22:23], off
	s_waitcnt vmcnt(1)
	v_mul_u32_u24_e32 v18, 0x10001, v18
	s_waitcnt vmcnt(0)
	v_ashrrev_i32_e32 v22, v229, v22
	v_and_b32_e32 v22, 0xf0f0f0f, v22
	v_lshrrev_b32_e32 v23, 16, v22
	v_and_b32_e32 v30, 0xf00, v23
	v_lshlrev_b16 v23, 8, v23
	v_add_nc_u16 v23, 0xf800, v23
	v_or_b32_sdwa v23, v30, v23 dst_sel:DWORD dst_unused:UNUSED_PAD src0_sel:DWORD src1_sel:BYTE_1
	v_and_b32_e32 v30, 0xf00, v22
	v_lshlrev_b16 v22, 8, v22
	v_add_nc_u16 v23, 0xf800, v23
	v_add_nc_u16 v22, 0xf800, v22
	v_or_b32_sdwa v22, v30, v22 dst_sel:DWORD dst_unused:UNUSED_PAD src0_sel:DWORD src1_sel:BYTE_1
	v_mul_u32_u24_sdwa v30, v21, v230 dst_sel:DWORD dst_unused:UNUSED_PAD src0_sel:WORD_0 src1_sel:DWORD
	v_mul_u32_u24_sdwa v21, v21, v230 dst_sel:DWORD dst_unused:UNUSED_PAD src0_sel:WORD_1 src1_sel:DWORD
	v_add_nc_u16 v22, 0xf800, v22
	v_lshrrev_b32_e32 v19, 8, v22
	v_cvt_f16_i16_sdwa v22, sext(v22) dst_sel:DWORD dst_unused:UNUSED_PAD src0_sel:BYTE_0
	v_cvt_f16_i16_sdwa v19, sext(v19) dst_sel:DWORD dst_unused:UNUSED_PAD src0_sel:BYTE_0
	v_pack_b32_f16 v19, v22, v19
	v_lshrrev_b32_e32 v22, 8, v23
	v_cvt_f16_i16_sdwa v23, sext(v23) dst_sel:DWORD dst_unused:UNUSED_PAD src0_sel:BYTE_0
	v_pk_mul_f16 v19, v19, v18
	v_cvt_f16_i16_sdwa v22, sext(v22) dst_sel:DWORD dst_unused:UNUSED_PAD src0_sel:BYTE_0
	v_pk_fma_f16 v28, v19, v20, v28
	v_pack_b32_f16 v22, v23, v22
	v_pk_fma_f16 v27, v19, v24, v27
	v_pk_mul_f16 v18, v22, v18
	v_pk_fma_f16 v29, v18, v20, v29
	v_pk_fma_f16 v26, v18, v24, v26
	v_add_co_u32 v18, vcc_lo, v111, s28
	v_add_co_ci_u32_e64 v19, null, 0, v112, vcc_lo
	v_add_co_u32 v22, vcc_lo, v109, s28
	v_add_co_ci_u32_e64 v23, null, 0, v110, vcc_lo
	global_load_ushort v18, v[18:19], off
	global_load_dword v20, v[22:23], off
	s_waitcnt vmcnt(1)
	v_mul_u32_u24_e32 v18, 0x10001, v18
	s_waitcnt vmcnt(0)
	v_ashrrev_i32_e32 v20, v229, v20
	v_and_b32_e32 v20, 0xf0f0f0f, v20
	v_lshrrev_b32_e32 v22, 16, v20
	v_and_b32_e32 v23, 0xf00, v22
	v_lshlrev_b16 v22, 8, v22
	v_add_nc_u16 v22, 0xf800, v22
	v_or_b32_sdwa v22, v23, v22 dst_sel:DWORD dst_unused:UNUSED_PAD src0_sel:DWORD src1_sel:BYTE_1
	v_and_b32_e32 v23, 0xf00, v20
	v_lshlrev_b16 v20, 8, v20
	v_add_nc_u16 v22, 0xf800, v22
	v_add_nc_u16 v20, 0xf800, v20
	v_or_b32_sdwa v20, v23, v20 dst_sel:DWORD dst_unused:UNUSED_PAD src0_sel:DWORD src1_sel:BYTE_1
	v_add_nc_u16 v20, 0xf800, v20
	v_lshrrev_b32_e32 v19, 8, v20
	v_cvt_f16_i16_sdwa v20, sext(v20) dst_sel:DWORD dst_unused:UNUSED_PAD src0_sel:BYTE_0
	v_cvt_f16_i16_sdwa v19, sext(v19) dst_sel:DWORD dst_unused:UNUSED_PAD src0_sel:BYTE_0
	v_pack_b32_f16 v19, v20, v19
	v_lshrrev_b32_e32 v20, 8, v22
	v_cvt_f16_i16_sdwa v22, sext(v22) dst_sel:DWORD dst_unused:UNUSED_PAD src0_sel:BYTE_0
	v_pk_mul_f16 v19, v19, v18
	v_cvt_f16_i16_sdwa v20, sext(v20) dst_sel:DWORD dst_unused:UNUSED_PAD src0_sel:BYTE_0
	v_pk_fma_f16 v24, v19, v31, v27
	v_pack_b32_f16 v20, v22, v20
	v_pk_mul_f16 v18, v20, v18
	v_pk_fma_f16 v20, v19, v30, v28
	v_pk_fma_f16 v22, v18, v30, v29
	;; [unrolled: 1-line block ×3, first 2 shown]
	v_add_co_u32 v18, vcc_lo, v107, s28
	v_add_co_ci_u32_e64 v19, null, 0, v108, vcc_lo
	v_add_co_u32 v26, vcc_lo, v105, s28
	v_add_co_ci_u32_e64 v27, null, 0, v106, vcc_lo
	global_load_ushort v18, v[18:19], off
	v_add_co_u32 v89, vcc_lo, v89, s3
	global_load_dword v26, v[26:27], off
	v_add_co_ci_u32_e64 v90, null, 0, v90, vcc_lo
	v_add_co_u32 v79, vcc_lo, v79, s8
	v_add_co_ci_u32_e64 v80, null, s9, v80, vcc_lo
	v_add_co_u32 v91, vcc_lo, v91, s8
	;; [unrolled: 2-line block ×70, first 2 shown]
	v_add_co_ci_u32_e64 v228, null, 0, v228, vcc_lo
	s_waitcnt vmcnt(1)
	v_mul_u32_u24_e32 v18, 0x10001, v18
	s_waitcnt vmcnt(0)
	v_ashrrev_i32_e32 v26, v229, v26
	v_and_b32_e32 v26, 0xf0f0f0f, v26
	v_lshrrev_b32_e32 v27, 16, v26
	v_and_b32_e32 v28, 0xf00, v27
	v_lshlrev_b16 v27, 8, v27
	v_add_nc_u16 v27, 0xf800, v27
	v_or_b32_sdwa v27, v28, v27 dst_sel:DWORD dst_unused:UNUSED_PAD src0_sel:DWORD src1_sel:BYTE_1
	v_and_b32_e32 v28, 0xf00, v26
	v_lshlrev_b16 v26, 8, v26
	v_add_nc_u16 v27, 0xf800, v27
	v_add_nc_u16 v26, 0xf800, v26
	v_or_b32_sdwa v26, v28, v26 dst_sel:DWORD dst_unused:UNUSED_PAD src0_sel:DWORD src1_sel:BYTE_1
	v_add_nc_u16 v26, 0xf800, v26
	v_lshrrev_b32_e32 v19, 8, v26
	v_cvt_f16_i16_sdwa v26, sext(v26) dst_sel:DWORD dst_unused:UNUSED_PAD src0_sel:BYTE_0
	v_cvt_f16_i16_sdwa v19, sext(v19) dst_sel:DWORD dst_unused:UNUSED_PAD src0_sel:BYTE_0
	v_pack_b32_f16 v19, v26, v19
	v_lshrrev_b32_e32 v26, 8, v27
	v_cvt_f16_i16_sdwa v27, sext(v27) dst_sel:DWORD dst_unused:UNUSED_PAD src0_sel:BYTE_0
	v_pk_mul_f16 v19, v19, v18
	v_cvt_f16_i16_sdwa v26, sext(v26) dst_sel:DWORD dst_unused:UNUSED_PAD src0_sel:BYTE_0
	v_pack_b32_f16 v26, v27, v26
	v_pk_mul_f16 v26, v26, v18
	v_pk_fma_f16 v18, v19, v21, v20
	v_pk_fma_f16 v20, v19, v25, v24
	;; [unrolled: 1-line block ×4, first 2 shown]
	s_cbranch_scc1 .LBB22_44
; %bb.42:                               ;   in Loop: Header=BB22_17 Depth=1
	v_mov_b32_e32 v23, v70
	v_mov_b32_e32 v22, v71
	s_branch .LBB22_17
.LBB22_43:
	v_mov_b32_e32 v70, 0xfeffffff
	v_mov_b32_e32 v82, 0
	;; [unrolled: 1-line block ×4, first 2 shown]
	s_branch .LBB22_45
.LBB22_44:
	ds_write_b128 v76, v[18:21]
.LBB22_45:
	s_cmp_eq_u64 s[20:21], 0
	s_cselect_b32 s1, -1, 0
	s_cmp_lg_u32 s34, 0
	s_cselect_b32 s2, -1, 0
	s_or_b32 s1, s2, s1
	s_nor_b32 s0, s1, s0
	s_and_saveexec_b32 s1, s0
	s_cbranch_execz .LBB22_47
; %bb.46:
	s_ashr_i32 s39, s38, 31
	v_cmp_eq_u32_e32 vcc_lo, 1, v1
	s_lshl_b64 s[2:3], s[38:39], 2
	s_add_u32 s2, s20, s2
	s_addc_u32 s3, s21, s3
	v_cndmask_b32_e32 v2, v70, v71, vcc_lo
	s_load_dword s0, s[2:3], 0x0
	v_max_f32_e32 v3, v2, v2
	s_waitcnt lgkmcnt(0)
	v_max_f32_e64 v4, s0, s0
	v_max_f32_e32 v4, v4, v3
	v_sub_f32_e32 v5, s0, v4
	v_sub_f32_e32 v6, v2, v4
	v_cndmask_b32_e32 v71, v71, v4, vcc_lo
	v_mul_f32_e32 v2, 0x3fb8aa3b, v5
	v_mul_f32_e32 v3, 0x3fb8aa3b, v6
	v_cmp_ngt_f32_e64 s0, 0xc2ce8ed0, v5
	v_fma_f32 v7, 0x3fb8aa3b, v5, -v2
	v_rndne_f32_e32 v8, v2
	v_fma_f32 v9, 0x3fb8aa3b, v6, -v3
	v_rndne_f32_e32 v10, v3
	v_fmac_f32_e32 v7, 0x32a5705f, v5
	v_sub_f32_e32 v2, v2, v8
	v_fmac_f32_e32 v9, 0x32a5705f, v6
	v_sub_f32_e32 v3, v3, v10
	v_add_f32_e32 v2, v2, v7
	v_cvt_i32_f32_e32 v7, v8
	v_add_f32_e32 v3, v3, v9
	v_cvt_i32_f32_e32 v8, v10
	v_lshl_add_u32 v9, v1, 3, v76
	v_exp_f32_e32 v2, v2
	v_exp_f32_e32 v3, v3
	v_ldexp_f32 v7, v2, v7
	v_ldexp_f32 v8, v3, v8
	ds_read_b64 v[2:3], v9
	v_cndmask_b32_e64 v7, 0, v7, s0
	v_cmp_ngt_f32_e64 s0, 0xc2ce8ed0, v6
	v_cndmask_b32_e64 v8, 0, v8, s0
	v_cmp_nlt_f32_e64 s0, 0x42b17218, v5
	v_cndmask_b32_e64 v5, 0x7f800000, v7, s0
	v_cmp_nlt_f32_e64 s0, 0x42b17218, v6
	v_mov_b32_e32 v7, 0x10001
	v_cndmask_b32_e64 v6, 0x7f800000, v8, s0
	v_cmp_eq_u32_e64 s0, 0, v0
	v_cndmask_b32_e32 v8, v82, v81, vcc_lo
	v_cvt_f16_f32_e32 v10, v6
	v_cndmask_b32_e64 v5, 0, v5, s0
	v_cmp_eq_u32_e64 s0, 0, v1
	v_fmac_f32_e32 v5, v8, v6
	v_mul_u32_u24_sdwa v6, v10, v7 dst_sel:DWORD dst_unused:UNUSED_PAD src0_sel:WORD_0 src1_sel:DWORD
	v_cndmask_b32_e64 v70, v70, v4, s0
	v_cndmask_b32_e32 v81, v81, v5, vcc_lo
	s_waitcnt lgkmcnt(0)
	v_pk_mul_f16 v2, v2, v6
	v_pk_mul_f16 v3, v3, v6
	v_cndmask_b32_e64 v82, v82, v5, s0
	ds_write_b64 v9, v[2:3]
.LBB22_47:
	s_or_b32 exec_lo, exec_lo, s1
	v_add_nc_u32_e32 v4, 0x500, v74
	v_or_b32_e32 v10, 0x400, v74
	s_mov_b32 s0, exec_lo
	v_cmpx_eq_u32_e32 0, v1
	s_cbranch_execz .LBB22_49
; %bb.48:
	v_mov_b32_e32 v2, 0xfeffffff
	v_mov_b32_e32 v3, 0
	ds_write2_b32 v10, v2, v2 offset1:32
	ds_write2_b32 v4, v3, v3 offset1:32
.LBB22_49:
	s_or_b32 exec_lo, exec_lo, s0
	v_cmp_eq_u32_e64 s0, 0, v0
	s_waitcnt lgkmcnt(0)
	s_barrier
	buffer_gl0_inv
	s_and_saveexec_b32 s1, s0
; %bb.50:
	v_lshlrev_b32_e32 v2, 2, v1
	v_add_nc_u32_e32 v2, 0x400, v2
	ds_write2_b32 v2, v70, v71 offset1:32
; %bb.51:
	s_or_b32 exec_lo, exec_lo, s1
	s_cmp_lt_i32 s30, s36
	s_waitcnt lgkmcnt(0)
	s_barrier
	buffer_gl0_inv
	s_cbranch_scc1 .LBB22_53
; %bb.52:
	s_load_dword s2, s[6:7], 0xd4
	s_cbranch_execz .LBB22_54
	s_branch .LBB22_61
.LBB22_53:
                                        ; implicit-def: $sgpr2
.LBB22_54:
	ds_read_b32 v2, v10
	v_xor_b32_e32 v3, 16, v78
	v_xor_b32_e32 v6, 8, v78
	;; [unrolled: 1-line block ×5, first 2 shown]
	v_cmp_gt_i32_e32 vcc_lo, 32, v3
	s_waitcnt lgkmcnt(0)
	s_load_dword s2, s[6:7], 0xd4
	v_mov_b32_e32 v15, 0x10001
	v_lshl_add_u32 v1, v1, 2, 0x500
	v_cndmask_b32_e32 v3, v78, v3, vcc_lo
	v_cmp_gt_i32_e32 vcc_lo, 32, v6
	v_lshlrev_b32_e32 v5, 2, v3
	v_cndmask_b32_e32 v6, v78, v6, vcc_lo
	v_cmp_gt_i32_e32 vcc_lo, 32, v7
	ds_bpermute_b32 v3, v5, v2
	v_max_f32_e32 v2, v2, v2
	v_lshlrev_b32_e32 v6, 2, v6
	v_cndmask_b32_e32 v7, v78, v7, vcc_lo
	v_cmp_gt_i32_e32 vcc_lo, 32, v8
	v_lshlrev_b32_e32 v7, 2, v7
	v_cndmask_b32_e32 v8, v78, v8, vcc_lo
	v_cmp_gt_i32_e32 vcc_lo, 32, v9
	v_lshlrev_b32_e32 v8, 2, v8
	v_cndmask_b32_e32 v9, v78, v9, vcc_lo
	v_lshlrev_b32_e32 v9, 2, v9
	s_waitcnt lgkmcnt(0)
	v_max_f32_e32 v3, v3, v3
	v_max_f32_e32 v2, v2, v3
	ds_bpermute_b32 v3, v6, v2
	s_waitcnt lgkmcnt(0)
	v_max_f32_e32 v3, v3, v3
	v_max_f32_e32 v2, v2, v3
	ds_bpermute_b32 v3, v7, v2
	;; [unrolled: 4-line block ×4, first 2 shown]
	s_waitcnt lgkmcnt(0)
	v_max_f32_e32 v3, v3, v3
	v_max_f32_e32 v2, v2, v3
	v_sub_f32_e32 v3, v70, v2
	v_mul_f32_e32 v11, 0x3fb8aa3b, v3
	v_cmp_ngt_f32_e32 vcc_lo, 0xc2ce8ed0, v3
	v_fma_f32 v12, 0x3fb8aa3b, v3, -v11
	v_rndne_f32_e32 v13, v11
	v_fmamk_f32 v12, v3, 0x32a5705f, v12
	v_sub_f32_e32 v11, v11, v13
	v_add_f32_e32 v11, v11, v12
	v_cvt_i32_f32_e32 v12, v13
	ds_read_b64 v[13:14], v76
	v_exp_f32_e32 v11, v11
	v_ldexp_f32 v11, v11, v12
	v_cndmask_b32_e32 v11, 0, v11, vcc_lo
	v_cmp_nlt_f32_e32 vcc_lo, 0x42b17218, v3
	v_cndmask_b32_e32 v11, 0x7f800000, v11, vcc_lo
	v_mul_f32_e32 v3, v82, v11
	ds_bpermute_b32 v3, v5, v3
	s_waitcnt lgkmcnt(0)
	v_fmac_f32_e32 v3, v82, v11
	v_cvt_f16_f32_e32 v11, v11
	ds_bpermute_b32 v12, v6, v3
	v_mul_u32_u24_sdwa v11, v11, v15 dst_sel:DWORD dst_unused:UNUSED_PAD src0_sel:WORD_0 src1_sel:DWORD
	v_lshlrev_b32_e32 v15, 3, v0
	v_pk_mul_f16 v13, v13, v11
	v_pk_mul_f16 v14, v14, v11
	v_add_nc_u32_e32 v11, v72, v15
	ds_write_b64 v76, v[13:14]
	ds_write_b64 v11, v[13:14]
	s_waitcnt lgkmcnt(2)
	v_add_f32_e32 v3, v3, v12
	ds_bpermute_b32 v12, v7, v3
	s_waitcnt lgkmcnt(0)
	v_add_f32_e32 v3, v3, v12
	ds_bpermute_b32 v12, v8, v3
	;; [unrolled: 3-line block ×3, first 2 shown]
	s_and_saveexec_b32 s1, s0
	s_cbranch_execz .LBB22_56
; %bb.55:
	s_waitcnt lgkmcnt(0)
	v_add_f32_e32 v3, v3, v12
	ds_write_b32 v1, v3
.LBB22_56:
	s_or_b32 exec_lo, exec_lo, s1
	s_waitcnt lgkmcnt(0)
	s_barrier
	buffer_gl0_inv
	ds_read_b32 v3, v4
	ds_read_u16 v12, v75
	ds_read_u16 v13, v75 offset:256
	ds_read_u16 v14, v75 offset:512
	;; [unrolled: 1-line block ×3, first 2 shown]
	s_cmp_eq_u32 s2, 1
	s_mul_i32 s3, s33, s36
	s_cselect_b32 s1, -1, 0
	s_add_i32 s3, s30, s3
	s_mul_i32 s3, s3, s37
	s_add_i32 s3, s3, s38
	s_mul_i32 s4, s2, s3
	s_add_i32 s4, s4, s34
	s_waitcnt lgkmcnt(4)
	ds_bpermute_b32 v16, v5, v3
	s_waitcnt lgkmcnt(4)
	v_cvt_f32_f16_e32 v12, v12
	s_waitcnt lgkmcnt(3)
	v_cvt_f32_f16_e32 v13, v13
	;; [unrolled: 2-line block ×3, first 2 shown]
	v_add_f32_e32 v12, 0, v12
	v_add_f32_e32 v12, v12, v13
	s_waitcnt lgkmcnt(1)
	v_cvt_f32_f16_e32 v13, v15
	v_add_f32_e32 v12, v12, v14
	s_waitcnt lgkmcnt(0)
	v_add_f32_e32 v3, v3, v16
	v_add_f32_e32 v14, v12, v13
	ds_bpermute_b32 v16, v6, v3
	s_waitcnt lgkmcnt(0)
	v_add_f32_e32 v3, v3, v16
	ds_bpermute_b32 v16, v7, v3
	s_waitcnt lgkmcnt(0)
	;; [unrolled: 3-line block ×4, first 2 shown]
	v_add_f32_e32 v82, v3, v16
	v_div_scale_f32 v3, null, v82, v82, v14
	v_div_scale_f32 v15, vcc_lo, v14, v82, v14
	v_rcp_f32_e32 v12, v3
	v_fma_f32 v13, -v3, v12, 1.0
	v_fmac_f32_e32 v12, v13, v12
	v_mul_f32_e32 v13, v15, v12
	v_fma_f32 v16, -v3, v13, v15
	v_fmac_f32_e32 v13, v16, v12
	v_fma_f32 v3, -v3, v13, v15
	v_div_fmas_f32 v3, v3, v12, v13
	v_mov_b32_e32 v13, 0
	v_lshl_or_b32 v12, s4, 7, v73
	s_or_b32 s4, s30, 1
	v_div_fixup_f32 v3, v3, v82, v14
	s_cmp_ge_i32 s4, s36
	v_lshlrev_b64 v[12:13], 2, v[12:13]
	v_cndmask_b32_e64 v14, v14, v3, s1
	v_mov_b32_e32 v3, v71
	v_add_co_u32 v12, vcc_lo, s24, v12
	v_add_co_ci_u32_e64 v13, null, s25, v13, vcc_lo
	global_store_dword v[12:13], v14, off
	s_waitcnt_vscnt null, 0x0
	s_barrier
	buffer_gl0_inv
	s_cbranch_scc1 .LBB22_60
; %bb.57:
	ds_read_b32 v3, v10 offset:128
	v_mov_b32_e32 v16, 0x10001
	s_waitcnt lgkmcnt(0)
	ds_bpermute_b32 v10, v5, v3
	v_max_f32_e32 v3, v3, v3
	s_waitcnt lgkmcnt(0)
	v_max_f32_e32 v10, v10, v10
	v_max_f32_e32 v3, v3, v10
	ds_bpermute_b32 v10, v6, v3
	s_waitcnt lgkmcnt(0)
	v_max_f32_e32 v10, v10, v10
	v_max_f32_e32 v3, v3, v10
	ds_bpermute_b32 v10, v7, v3
	;; [unrolled: 4-line block ×4, first 2 shown]
	s_waitcnt lgkmcnt(0)
	v_max_f32_e32 v10, v10, v10
	v_max_f32_e32 v3, v3, v10
	v_sub_f32_e32 v10, v71, v3
	v_mul_f32_e32 v12, 0x3fb8aa3b, v10
	v_cmp_ngt_f32_e32 vcc_lo, 0xc2ce8ed0, v10
	v_fma_f32 v13, 0x3fb8aa3b, v10, -v12
	v_rndne_f32_e32 v14, v12
	v_fmamk_f32 v13, v10, 0x32a5705f, v13
	v_sub_f32_e32 v12, v12, v14
	v_add_f32_e32 v12, v12, v13
	v_cvt_i32_f32_e32 v13, v14
	v_exp_f32_e32 v12, v12
	v_ldexp_f32 v12, v12, v13
	ds_read_b64 v[13:14], v76 offset:8
	v_cndmask_b32_e32 v12, 0, v12, vcc_lo
	v_cmp_nlt_f32_e32 vcc_lo, 0x42b17218, v10
	v_cndmask_b32_e32 v15, 0x7f800000, v12, vcc_lo
	v_mul_f32_e32 v10, v81, v15
	ds_bpermute_b32 v10, v5, v10
	s_waitcnt lgkmcnt(0)
	v_fmac_f32_e32 v10, v81, v15
	v_cvt_f16_f32_e32 v15, v15
	ds_bpermute_b32 v12, v6, v10
	v_mul_u32_u24_sdwa v15, v15, v16 dst_sel:DWORD dst_unused:UNUSED_PAD src0_sel:WORD_0 src1_sel:DWORD
	v_pk_mul_f16 v13, v13, v15
	v_pk_mul_f16 v14, v14, v15
	ds_write_b64 v76, v[13:14] offset:8
	ds_write_b64 v11, v[13:14]
	s_waitcnt lgkmcnt(2)
	v_add_f32_e32 v10, v10, v12
	ds_bpermute_b32 v12, v7, v10
	s_waitcnt lgkmcnt(0)
	v_add_f32_e32 v10, v10, v12
	ds_bpermute_b32 v12, v8, v10
	;; [unrolled: 3-line block ×3, first 2 shown]
	s_and_saveexec_b32 s4, s0
	s_cbranch_execz .LBB22_59
; %bb.58:
	s_waitcnt lgkmcnt(0)
	v_add_f32_e32 v10, v10, v12
	ds_write_b32 v1, v10 offset:128
.LBB22_59:
	s_or_b32 exec_lo, exec_lo, s4
	s_waitcnt lgkmcnt(0)
	s_barrier
	buffer_gl0_inv
	ds_read_b32 v1, v4 offset:128
	ds_read_u16 v4, v75
	ds_read_u16 v10, v75 offset:256
	ds_read_u16 v11, v75 offset:512
	;; [unrolled: 1-line block ×3, first 2 shown]
	s_add_i32 s3, s3, s37
	s_mul_i32 s0, s2, s3
	s_add_i32 s0, s0, s34
	s_waitcnt lgkmcnt(4)
	ds_bpermute_b32 v5, v5, v1
	s_waitcnt lgkmcnt(4)
	v_cvt_f32_f16_e32 v4, v4
	v_add_f32_e32 v4, 0, v4
	s_waitcnt lgkmcnt(0)
	v_add_f32_e32 v1, v1, v5
	ds_bpermute_b32 v5, v6, v1
	v_cvt_f32_f16_e32 v6, v10
	v_add_f32_e32 v4, v4, v6
	v_cvt_f32_f16_e32 v6, v12
	s_waitcnt lgkmcnt(0)
	v_add_f32_e32 v1, v1, v5
	ds_bpermute_b32 v5, v7, v1
	v_cvt_f32_f16_e32 v7, v11
	v_add_f32_e32 v4, v4, v7
	v_add_f32_e32 v6, v4, v6
	s_waitcnt lgkmcnt(0)
	v_add_f32_e32 v1, v1, v5
	ds_bpermute_b32 v5, v8, v1
	s_waitcnt lgkmcnt(0)
	v_add_f32_e32 v1, v1, v5
	ds_bpermute_b32 v5, v9, v1
	s_waitcnt lgkmcnt(0)
	v_add_f32_e32 v81, v1, v5
	v_div_scale_f32 v1, null, v81, v81, v6
	v_div_scale_f32 v5, vcc_lo, v6, v81, v6
	v_rcp_f32_e32 v7, v1
	v_fma_f32 v4, -v1, v7, 1.0
	v_fmac_f32_e32 v7, v4, v7
	v_mul_f32_e32 v8, v5, v7
	v_fma_f32 v4, -v1, v8, v5
	v_fmac_f32_e32 v8, v4, v7
	v_lshl_or_b32 v4, s0, 7, v73
	v_fma_f32 v1, -v1, v8, v5
	v_mov_b32_e32 v5, 0
	v_div_fmas_f32 v1, v1, v7, v8
	v_lshlrev_b64 v[4:5], 2, v[4:5]
	v_div_fixup_f32 v1, v1, v81, v6
	v_add_co_u32 v4, vcc_lo, s24, v4
	v_add_co_ci_u32_e64 v5, null, s25, v5, vcc_lo
	v_cndmask_b32_e64 v1, v6, v1, s1
	global_store_dword v[4:5], v1, off
.LBB22_60:
	v_mov_b32_e32 v71, v3
	v_mov_b32_e32 v70, v2
.LBB22_61:
	v_or_b32_e32 v0, s30, v0
	v_cmp_gt_u32_e32 vcc_lo, 2, v73
	s_waitcnt lgkmcnt(0)
	s_cmp_lg_u32 s2, 1
	s_cselect_b32 s1, -1, 0
	v_cmp_gt_i32_e64 s0, s36, v0
	s_and_b32 s1, s1, vcc_lo
	s_and_b32 s0, s1, s0
	s_and_saveexec_b32 s1, s0
	s_cbranch_execz .LBB22_63
; %bb.62:
	v_mad_u64_u32 v[0:1], null, s33, s36, v[0:1]
	v_cmp_eq_u32_e32 vcc_lo, 1, v73
	v_cndmask_b32_e32 v2, v70, v71, vcc_lo
	v_mad_u64_u32 v[0:1], null, v0, s37, s[38:39]
	v_cndmask_b32_e32 v3, v82, v81, vcc_lo
	v_mad_u64_u32 v[0:1], null, s2, v0, s[34:35]
	v_mov_b32_e32 v1, 0
	v_lshlrev_b64 v[0:1], 3, v[0:1]
	v_add_co_u32 v0, vcc_lo, s26, v0
	v_add_co_ci_u32_e64 v1, null, s27, v1, vcc_lo
	global_store_dwordx2 v[0:1], v[2:3], off
.LBB22_63:
	s_endpgm
	.section	.rodata,"a",@progbits
	.p2align	6, 0x0
	.amdhsa_kernel _ZL18flash_attn_ext_vecILi128ELi2EL9ggml_type2ELS0_2ELb1EEvPKcS2_S2_S2_S2_PKiPfP15HIP_vector_typeIfLj2EEffffjfiS6_IjLj3EEiiiiiiiiiiiliiliiiiil
		.amdhsa_group_segment_fixed_size 3584
		.amdhsa_private_segment_fixed_size 0
		.amdhsa_kernarg_size 464
		.amdhsa_user_sgpr_count 8
		.amdhsa_user_sgpr_private_segment_buffer 1
		.amdhsa_user_sgpr_dispatch_ptr 1
		.amdhsa_user_sgpr_queue_ptr 0
		.amdhsa_user_sgpr_kernarg_segment_ptr 1
		.amdhsa_user_sgpr_dispatch_id 0
		.amdhsa_user_sgpr_flat_scratch_init 0
		.amdhsa_user_sgpr_private_segment_size 0
		.amdhsa_wavefront_size32 1
		.amdhsa_uses_dynamic_stack 0
		.amdhsa_system_sgpr_private_segment_wavefront_offset 0
		.amdhsa_system_sgpr_workgroup_id_x 1
		.amdhsa_system_sgpr_workgroup_id_y 1
		.amdhsa_system_sgpr_workgroup_id_z 1
		.amdhsa_system_sgpr_workgroup_info 0
		.amdhsa_system_vgpr_workitem_id 2
		.amdhsa_next_free_vgpr 253
		.amdhsa_next_free_sgpr 52
		.amdhsa_reserve_vcc 1
		.amdhsa_reserve_flat_scratch 0
		.amdhsa_float_round_mode_32 0
		.amdhsa_float_round_mode_16_64 0
		.amdhsa_float_denorm_mode_32 3
		.amdhsa_float_denorm_mode_16_64 3
		.amdhsa_dx10_clamp 1
		.amdhsa_ieee_mode 1
		.amdhsa_fp16_overflow 0
		.amdhsa_workgroup_processor_mode 1
		.amdhsa_memory_ordered 1
		.amdhsa_forward_progress 1
		.amdhsa_shared_vgpr_count 0
		.amdhsa_exception_fp_ieee_invalid_op 0
		.amdhsa_exception_fp_denorm_src 0
		.amdhsa_exception_fp_ieee_div_zero 0
		.amdhsa_exception_fp_ieee_overflow 0
		.amdhsa_exception_fp_ieee_underflow 0
		.amdhsa_exception_fp_ieee_inexact 0
		.amdhsa_exception_int_div_zero 0
	.end_amdhsa_kernel
	.section	.text._ZL18flash_attn_ext_vecILi128ELi2EL9ggml_type2ELS0_2ELb1EEvPKcS2_S2_S2_S2_PKiPfP15HIP_vector_typeIfLj2EEffffjfiS6_IjLj3EEiiiiiiiiiiiliiliiiiil,"axG",@progbits,_ZL18flash_attn_ext_vecILi128ELi2EL9ggml_type2ELS0_2ELb1EEvPKcS2_S2_S2_S2_PKiPfP15HIP_vector_typeIfLj2EEffffjfiS6_IjLj3EEiiiiiiiiiiiliiliiiiil,comdat
.Lfunc_end22:
	.size	_ZL18flash_attn_ext_vecILi128ELi2EL9ggml_type2ELS0_2ELb1EEvPKcS2_S2_S2_S2_PKiPfP15HIP_vector_typeIfLj2EEffffjfiS6_IjLj3EEiiiiiiiiiiiliiliiiiil, .Lfunc_end22-_ZL18flash_attn_ext_vecILi128ELi2EL9ggml_type2ELS0_2ELb1EEvPKcS2_S2_S2_S2_PKiPfP15HIP_vector_typeIfLj2EEffffjfiS6_IjLj3EEiiiiiiiiiiiliiliiiiil
                                        ; -- End function
	.set _ZL18flash_attn_ext_vecILi128ELi2EL9ggml_type2ELS0_2ELb1EEvPKcS2_S2_S2_S2_PKiPfP15HIP_vector_typeIfLj2EEffffjfiS6_IjLj3EEiiiiiiiiiiiliiliiiiil.num_vgpr, 253
	.set _ZL18flash_attn_ext_vecILi128ELi2EL9ggml_type2ELS0_2ELb1EEvPKcS2_S2_S2_S2_PKiPfP15HIP_vector_typeIfLj2EEffffjfiS6_IjLj3EEiiiiiiiiiiiliiliiiiil.num_agpr, 0
	.set _ZL18flash_attn_ext_vecILi128ELi2EL9ggml_type2ELS0_2ELb1EEvPKcS2_S2_S2_S2_PKiPfP15HIP_vector_typeIfLj2EEffffjfiS6_IjLj3EEiiiiiiiiiiiliiliiiiil.numbered_sgpr, 52
	.set _ZL18flash_attn_ext_vecILi128ELi2EL9ggml_type2ELS0_2ELb1EEvPKcS2_S2_S2_S2_PKiPfP15HIP_vector_typeIfLj2EEffffjfiS6_IjLj3EEiiiiiiiiiiiliiliiiiil.num_named_barrier, 0
	.set _ZL18flash_attn_ext_vecILi128ELi2EL9ggml_type2ELS0_2ELb1EEvPKcS2_S2_S2_S2_PKiPfP15HIP_vector_typeIfLj2EEffffjfiS6_IjLj3EEiiiiiiiiiiiliiliiiiil.private_seg_size, 0
	.set _ZL18flash_attn_ext_vecILi128ELi2EL9ggml_type2ELS0_2ELb1EEvPKcS2_S2_S2_S2_PKiPfP15HIP_vector_typeIfLj2EEffffjfiS6_IjLj3EEiiiiiiiiiiiliiliiiiil.uses_vcc, 1
	.set _ZL18flash_attn_ext_vecILi128ELi2EL9ggml_type2ELS0_2ELb1EEvPKcS2_S2_S2_S2_PKiPfP15HIP_vector_typeIfLj2EEffffjfiS6_IjLj3EEiiiiiiiiiiiliiliiiiil.uses_flat_scratch, 0
	.set _ZL18flash_attn_ext_vecILi128ELi2EL9ggml_type2ELS0_2ELb1EEvPKcS2_S2_S2_S2_PKiPfP15HIP_vector_typeIfLj2EEffffjfiS6_IjLj3EEiiiiiiiiiiiliiliiiiil.has_dyn_sized_stack, 0
	.set _ZL18flash_attn_ext_vecILi128ELi2EL9ggml_type2ELS0_2ELb1EEvPKcS2_S2_S2_S2_PKiPfP15HIP_vector_typeIfLj2EEffffjfiS6_IjLj3EEiiiiiiiiiiiliiliiiiil.has_recursion, 0
	.set _ZL18flash_attn_ext_vecILi128ELi2EL9ggml_type2ELS0_2ELb1EEvPKcS2_S2_S2_S2_PKiPfP15HIP_vector_typeIfLj2EEffffjfiS6_IjLj3EEiiiiiiiiiiiliiliiiiil.has_indirect_call, 0
	.section	.AMDGPU.csdata,"",@progbits
; Kernel info:
; codeLenInByte = 23748
; TotalNumSgprs: 54
; NumVgprs: 253
; ScratchSize: 0
; MemoryBound: 0
; FloatMode: 240
; IeeeMode: 1
; LDSByteSize: 3584 bytes/workgroup (compile time only)
; SGPRBlocks: 0
; VGPRBlocks: 31
; NumSGPRsForWavesPerEU: 54
; NumVGPRsForWavesPerEU: 253
; Occupancy: 4
; WaveLimiterHint : 0
; COMPUTE_PGM_RSRC2:SCRATCH_EN: 0
; COMPUTE_PGM_RSRC2:USER_SGPR: 8
; COMPUTE_PGM_RSRC2:TRAP_HANDLER: 0
; COMPUTE_PGM_RSRC2:TGID_X_EN: 1
; COMPUTE_PGM_RSRC2:TGID_Y_EN: 1
; COMPUTE_PGM_RSRC2:TGID_Z_EN: 1
; COMPUTE_PGM_RSRC2:TIDIG_COMP_CNT: 2
	.section	.text._ZL18flash_attn_ext_vecILi256ELi1EL9ggml_type2ELS0_2ELb0EEvPKcS2_S2_S2_S2_PKiPfP15HIP_vector_typeIfLj2EEffffjfiS6_IjLj3EEiiiiiiiiiiiliiliiiiil,"axG",@progbits,_ZL18flash_attn_ext_vecILi256ELi1EL9ggml_type2ELS0_2ELb0EEvPKcS2_S2_S2_S2_PKiPfP15HIP_vector_typeIfLj2EEffffjfiS6_IjLj3EEiiiiiiiiiiiliiliiiiil,comdat
	.globl	_ZL18flash_attn_ext_vecILi256ELi1EL9ggml_type2ELS0_2ELb0EEvPKcS2_S2_S2_S2_PKiPfP15HIP_vector_typeIfLj2EEffffjfiS6_IjLj3EEiiiiiiiiiiiliiliiiiil ; -- Begin function _ZL18flash_attn_ext_vecILi256ELi1EL9ggml_type2ELS0_2ELb0EEvPKcS2_S2_S2_S2_PKiPfP15HIP_vector_typeIfLj2EEffffjfiS6_IjLj3EEiiiiiiiiiiiliiliiiiil
	.p2align	8
	.type	_ZL18flash_attn_ext_vecILi256ELi1EL9ggml_type2ELS0_2ELb0EEvPKcS2_S2_S2_S2_PKiPfP15HIP_vector_typeIfLj2EEffffjfiS6_IjLj3EEiiiiiiiiiiiliiliiiiil,@function
_ZL18flash_attn_ext_vecILi256ELi1EL9ggml_type2ELS0_2ELb0EEvPKcS2_S2_S2_S2_PKiPfP15HIP_vector_typeIfLj2EEffffjfiS6_IjLj3EEiiiiiiiiiiiliiliiiiil: ; @_ZL18flash_attn_ext_vecILi256ELi1EL9ggml_type2ELS0_2ELb0EEvPKcS2_S2_S2_S2_PKiPfP15HIP_vector_typeIfLj2EEffffjfiS6_IjLj3EEiiiiiiiiiiiliiliiiiil
; %bb.0:
	s_clause 0x2
	s_load_dwordx2 s[80:81], s[4:5], 0x64
	s_load_dwordx2 s[84:85], s[4:5], 0x80
	;; [unrolled: 1-line block ×3, first 2 shown]
	v_mov_b32_e32 v33, v0
	s_mov_b64 s[98:99], s[2:3]
	s_mov_b64 s[96:97], s[0:1]
	v_mov_b32_e32 v32, v1
	s_add_u32 s96, s96, s9
	s_addc_u32 s97, s97, 0
	v_mov_b32_e32 v2, 1.0
	buffer_store_dword v2, off, s[96:99], 0 offset:548 ; 4-byte Folded Spill
	s_waitcnt lgkmcnt(0)
	v_cvt_f32_u32_e32 v0, s81
	s_sub_i32 s1, 0, s81
	v_rcp_iflag_f32_e32 v0, v0
	v_mul_f32_e32 v0, 0x4f7ffffe, v0
	v_cvt_u32_f32_e32 v0, v0
	v_readfirstlane_b32 s0, v0
	s_mul_i32 s1, s1, s0
	s_mul_hi_u32 s1, s0, s1
	s_add_i32 s0, s0, s1
	s_mul_hi_u32 s0, s8, s0
	s_mul_i32 s1, s0, s81
	s_add_i32 s2, s0, 1
	s_sub_i32 s1, s8, s1
	s_sub_i32 s3, s1, s81
	s_cmp_ge_u32 s1, s81
	s_cselect_b32 s0, s2, s0
	s_cselect_b32 s1, s3, s1
	s_add_i32 s2, s0, 1
	s_cmp_ge_u32 s1, s81
	s_cselect_b32 s90, s2, s0
	s_abs_i32 s0, s85
	s_abs_i32 s9, s81
	v_cvt_f32_u32_e32 v0, s0
	s_sub_i32 s2, 0, s0
	s_xor_b32 s3, s81, s85
	s_ashr_i32 s3, s3, 31
	v_rcp_iflag_f32_e32 v0, v0
	v_mul_f32_e32 v0, 0x4f7ffffe, v0
	v_cvt_u32_f32_e32 v0, v0
	v_readfirstlane_b32 s1, v0
	s_mul_i32 s2, s2, s1
	s_mul_hi_u32 s2, s1, s2
	s_add_i32 s1, s1, s2
	s_mul_i32 s2, s90, s81
	s_mul_hi_u32 s1, s9, s1
	s_sub_i32 s82, s8, s2
	s_mul_i32 s10, s1, s0
	s_add_i32 s8, s1, 1
	s_sub_i32 s2, s9, s10
	s_sub_i32 s9, s2, s0
	s_cmp_ge_u32 s2, s0
	s_cselect_b32 s1, s8, s1
	s_cselect_b32 s2, s9, s2
	s_add_i32 s8, s1, 1
	s_cmp_ge_u32 s2, s0
	s_cselect_b32 s0, s8, s1
	s_abs_i32 s12, s12
	s_xor_b32 s0, s0, s3
	v_cvt_f32_u32_e32 v0, s12
	s_sub_i32 s17, s0, s3
	s_clause 0x1
	s_load_dwordx4 s[8:11], s[4:5], 0x40
	s_load_dword s0, s[4:5], 0x50
	s_abs_i32 s14, s17
	v_rcp_iflag_f32_e32 v0, v0
	v_cvt_f32_u32_e32 v1, s14
	s_sub_i32 s2, 0, s14
	s_abs_i32 s16, s82
	s_abs_i32 s15, s90
	v_rcp_iflag_f32_e32 v1, v1
	v_mul_f32_e32 v0, 0x4f7ffffe, v0
	v_cvt_u32_f32_e32 v0, v0
	v_mul_f32_e32 v1, 0x4f7ffffe, v1
	s_waitcnt lgkmcnt(0)
	v_cmp_le_f32_e64 s1, s9, 0
	v_readfirstlane_b32 s3, v0
	v_cvt_u32_f32_e32 v1, v1
	s_and_b32 vcc_lo, exec_lo, s1
	s_sub_i32 s1, 0, s12
	s_mul_i32 s1, s1, s3
	v_readfirstlane_b32 s9, v1
	s_mul_hi_u32 s1, s3, s1
	s_add_i32 s3, s3, s1
	s_mul_i32 s2, s2, s9
	s_mul_hi_u32 s2, s9, s2
	s_add_i32 s9, s9, s2
	s_cbranch_vccnz .LBB23_2
; %bb.1:
	v_sub_co_u32 v1, vcc_lo, s82, s0
	v_mov_b32_e32 v0, s10
	s_add_i32 s0, s82, 1
	v_lshlrev_b32_e32 v1, 1, v1
	v_cndmask_b32_e32 v0, s11, v0, vcc_lo
	v_or_b32_e32 v1, 1, v1
	v_cndmask_b32_e64 v1, v1, s0, vcc_lo
	v_cmp_neq_f32_e32 vcc_lo, 1.0, v0
	s_mov_b32 s0, 0x3e76c4e1
	v_cvt_f32_i32_e32 v1, v1
	v_cndmask_b32_e32 v2, 1.0, v1, vcc_lo
	v_cmp_neq_f32_e32 vcc_lo, 0, v2
	v_cndmask_b32_e32 v3, 1.0, v0, vcc_lo
	v_frexp_mant_f32_e64 v0, |v3|
	v_cmp_eq_f32_e64 s2, 0, v3
	v_cmp_gt_f32_e32 vcc_lo, 0x3f2aaaab, v0
	v_cndmask_b32_e64 v1, 1.0, 2.0, vcc_lo
	v_mul_f32_e32 v0, v0, v1
	v_add_f32_e32 v1, 1.0, v0
	v_add_f32_e32 v5, -1.0, v0
	v_rcp_f32_e32 v4, v1
	v_add_f32_e32 v7, -1.0, v1
	v_sub_f32_e32 v0, v0, v7
	v_mul_f32_e32 v6, v5, v4
	v_mul_f32_e32 v8, v1, v6
	v_fma_f32 v1, v6, v1, -v8
	v_fmac_f32_e32 v1, v6, v0
	v_add_f32_e32 v0, v8, v1
	v_sub_f32_e32 v7, v5, v0
	v_sub_f32_e32 v8, v0, v8
	;; [unrolled: 1-line block ×5, first 2 shown]
	v_add_f32_e32 v0, v1, v0
	v_add_f32_e32 v0, v7, v0
	v_mul_f32_e32 v0, v4, v0
	v_add_f32_e32 v4, v6, v0
	v_sub_f32_e32 v1, v4, v6
	v_mul_f32_e32 v5, v4, v4
	v_sub_f32_e32 v6, v0, v1
	v_fma_f32 v0, v4, v4, -v5
	v_add_f32_e32 v1, v6, v6
	v_fmac_f32_e32 v0, v4, v1
	v_add_f32_e32 v7, v5, v0
	v_fmaak_f32 v1, s0, v7, 0x3e91f4c4
	v_sub_f32_e32 v5, v7, v5
	v_mul_f32_e32 v12, v4, v7
	v_fmaak_f32 v1, v7, v1, 0x3ecccdef
	v_sub_f32_e32 v5, v0, v5
	v_fma_f32 v13, v7, v4, -v12
	v_mul_f32_e32 v8, v7, v1
	v_fmac_f32_e32 v13, v7, v6
	v_ldexp_f32 v6, v6, 1
	v_fma_f32 v9, v7, v1, -v8
	v_fmac_f32_e32 v13, v5, v4
	v_fmac_f32_e32 v9, v5, v1
	v_cvt_f64_f32_e64 v[0:1], |v3|
	v_add_f32_e32 v10, v8, v9
	v_sub_f32_e32 v8, v10, v8
	v_add_f32_e32 v11, 0x3f2aaaaa, v10
	v_sub_f32_e32 v8, v9, v8
	v_add_f32_e32 v9, 0xbf2aaaaa, v11
	v_add_f32_e32 v8, 0x31739010, v8
	v_sub_f32_e32 v9, v10, v9
	v_frexp_exp_i32_f64_e32 v0, v[0:1]
	v_add_f32_e32 v7, v8, v9
	v_add_f32_e32 v8, v12, v13
	;; [unrolled: 1-line block ×3, first 2 shown]
	v_sub_f32_e32 v10, v8, v12
	v_sub_f32_e32 v1, v11, v5
	v_mul_f32_e32 v9, v8, v5
	v_sub_f32_e32 v10, v13, v10
	v_add_f32_e32 v1, v7, v1
	v_fma_f32 v7, v8, v5, -v9
	v_subrev_co_ci_u32_e64 v0, null, 0, v0, vcc_lo
	v_fmac_f32_e32 v7, v8, v1
	v_ldexp_f32 v1, v4, 1
	v_cvt_f32_i32_e32 v0, v0
	v_fmac_f32_e32 v7, v10, v5
	v_add_f32_e32 v4, v9, v7
	v_add_f32_e32 v5, v1, v4
	v_sub_f32_e32 v8, v4, v9
	v_mul_f32_e32 v9, 0x3f317218, v0
	v_sub_f32_e32 v1, v5, v1
	v_sub_f32_e32 v7, v7, v8
	v_fma_f32 v8, 0x3f317218, v0, -v9
	v_sub_f32_e32 v1, v4, v1
	v_add_f32_e32 v4, v6, v7
	v_fmamk_f32 v0, v0, 0xb102e308, v8
	v_add_f32_e32 v1, v4, v1
	v_add_f32_e32 v4, v9, v0
	;; [unrolled: 1-line block ×3, first 2 shown]
	v_sub_f32_e32 v9, v4, v9
	v_add_f32_e32 v7, v4, v6
	v_sub_f32_e32 v5, v6, v5
	v_sub_f32_e32 v0, v0, v9
	v_sub_f32_e32 v8, v7, v4
	v_sub_f32_e32 v1, v1, v5
	v_sub_f32_e32 v10, v7, v8
	v_sub_f32_e32 v5, v6, v8
	v_add_f32_e32 v6, v0, v1
	v_sub_f32_e32 v4, v4, v10
	v_add_f32_e32 v4, v5, v4
	v_sub_f32_e32 v5, v6, v0
	;; [unrolled: 2-line block ×3, first 2 shown]
	v_sub_f32_e32 v1, v1, v5
	v_add_f32_e32 v8, v7, v4
	v_sub_f32_e32 v0, v0, v6
	v_sub_f32_e32 v5, v8, v7
	v_add_f32_e32 v0, v1, v0
	v_sub_f32_e32 v1, v4, v5
	v_add_f32_e32 v0, v0, v1
	v_add_f32_e32 v1, v8, v0
	v_sub_f32_e32 v4, v1, v8
	v_mul_f32_e32 v5, v2, v1
	v_sub_f32_e32 v0, v0, v4
	v_fma_f32 v1, v2, v1, -v5
	v_cmp_class_f32_e64 vcc_lo, v5, 0x204
	v_fmac_f32_e32 v1, v2, v0
	v_add_f32_e32 v0, v5, v1
	v_cndmask_b32_e32 v4, v0, v5, vcc_lo
	v_sub_f32_e32 v0, v0, v5
	v_cmp_eq_f32_e32 vcc_lo, 0x42b17218, v4
	v_sub_f32_e32 v0, v1, v0
	v_cndmask_b32_e64 v6, 0, 0x37000000, vcc_lo
	v_cmp_neq_f32_e64 vcc_lo, 0x7f800000, |v4|
	v_sub_f32_e32 v7, v4, v6
	v_cndmask_b32_e32 v0, 0, v0, vcc_lo
	v_trunc_f32_e32 v4, v2
	v_mul_f32_e32 v8, 0x3fb8aa3b, v7
	v_cmp_ngt_f32_e32 vcc_lo, 0xc2ce8ed0, v7
	v_add_f32_e32 v0, v6, v0
	v_fma_f32 v9, 0x3fb8aa3b, v7, -v8
	v_rndne_f32_e32 v10, v8
	v_fmamk_f32 v9, v7, 0x32a5705f, v9
	v_sub_f32_e32 v8, v8, v10
	v_cvt_i32_f32_e32 v5, v10
	v_add_f32_e32 v8, v8, v9
	v_exp_f32_e32 v8, v8
	v_ldexp_f32 v1, v8, v5
	v_mul_f32_e32 v5, 0.5, v2
	v_cndmask_b32_e32 v1, 0, v1, vcc_lo
	v_cmp_nlt_f32_e32 vcc_lo, 0x42b17218, v7
	v_trunc_f32_e32 v8, v5
	v_cndmask_b32_e32 v1, 0x7f800000, v1, vcc_lo
	v_cmp_eq_f32_e32 vcc_lo, v4, v2
	v_cmp_neq_f32_e64 s0, v8, v5
	v_fma_f32 v0, v1, v0, v1
	v_cmp_class_f32_e64 s1, v1, 0x204
	s_and_b32 s0, vcc_lo, s0
	v_cndmask_b32_e64 v4, 1.0, v3, s0
	v_cndmask_b32_e64 v0, v0, v1, s1
	v_cmp_gt_f32_e64 s1, 0, v2
	v_bfi_b32 v0, 0x7fffffff, v0, v4
	s_xor_b32 s1, s1, s2
	v_cndmask_b32_e64 v4, 0, v3, s0
	v_cndmask_b32_e64 v1, 0x7f800000, 0, s1
	v_cmp_class_f32_e64 s0, v3, 0x204
	v_cndmask_b32_e32 v2, 0x7fc00000, v0, vcc_lo
	v_cmp_gt_f32_e32 vcc_lo, 0, v3
	v_bfi_b32 v1, 0x7fffffff, v1, v4
	v_cndmask_b32_e32 v0, v0, v2, vcc_lo
	s_or_b32 vcc_lo, s2, s0
	v_cndmask_b32_e32 v0, v0, v1, vcc_lo
	v_cmp_o_f32_e32 vcc_lo, v3, v3
	v_cndmask_b32_e32 v0, 0x7fc00000, v0, vcc_lo
	buffer_store_dword v0, off, s[96:99], 0 offset:548 ; 4-byte Folded Spill
.LBB23_2:
	s_load_dwordx16 s[60:75], s[4:5], 0x0
	v_cmp_eq_u32_e64 s0, 0, v32
	v_mbcnt_lo_u32_b32 v34, -1, 0
	s_mul_hi_u32 s10, s16, s9
	s_mul_hi_u32 s9, s15, s3
	s_and_saveexec_b32 s11, s0
	s_cbranch_execz .LBB23_11
; %bb.3:
	s_load_dwordx4 s[20:23], s[4:5], 0x70
	v_lshlrev_b32_e32 v13, 4, v33
	v_xor_b32_e32 v0, 4, v34
	v_xor_b32_e32 v6, 2, v34
	;; [unrolled: 1-line block ×3, first 2 shown]
	s_mov_b32 s18, exec_lo
	v_cmp_gt_i32_e32 vcc_lo, 32, v0
	v_cndmask_b32_e32 v0, v34, v0, vcc_lo
	v_cmp_gt_i32_e32 vcc_lo, 32, v6
	v_lshlrev_b32_e32 v0, 2, v0
	v_cndmask_b32_e32 v6, v34, v6, vcc_lo
	v_cmp_gt_i32_e32 vcc_lo, 32, v8
	s_waitcnt lgkmcnt(0)
	s_mul_i32 s1, s90, s22
	s_mul_i32 s2, s20, s6
	;; [unrolled: 1-line block ×3, first 2 shown]
	s_add_i32 s1, s1, s2
	v_lshlrev_b32_e32 v6, 2, v6
	s_add_i32 s1, s1, s3
	v_cndmask_b32_e32 v8, v34, v8, vcc_lo
	s_ashr_i32 s3, s1, 31
	s_add_u32 s2, s60, s1
	s_addc_u32 s3, s61, s3
	global_load_dwordx4 v[2:5], v13, s[2:3]
	s_waitcnt vmcnt(0)
	v_mul_f32_e32 v7, s8, v2
	v_mul_f32_e32 v9, s8, v3
	;; [unrolled: 1-line block ×4, first 2 shown]
	v_max_f32_e64 v1, |v7|, |v9|
	v_fma_f32 v2, s8, v2, v9
	v_max3_f32 v1, v1, |v11|, |v10|
	v_fmac_f32_e32 v2, s8, v4
	ds_bpermute_b32 v3, v0, v1
	v_fmac_f32_e32 v2, s8, v5
	ds_bpermute_b32 v5, v0, v2
	s_waitcnt lgkmcnt(1)
	v_max_f32_e32 v3, v3, v3
	v_max_f32_e32 v3, v1, v3
	s_waitcnt lgkmcnt(0)
	v_add_f32_e32 v2, v2, v5
	ds_bpermute_b32 v1, v6, v3
	s_waitcnt lgkmcnt(0)
	v_max_f32_e32 v12, v1, v1
	v_lshlrev_b32_e32 v1, 2, v8
	v_max_f32_e32 v3, v3, v12
	ds_bpermute_b32 v8, v1, v3
	s_waitcnt lgkmcnt(0)
	v_max_f32_e32 v4, v8, v8
	ds_bpermute_b32 v8, v6, v2
	v_max_f32_e32 v3, v3, v4
	v_div_scale_f32 v4, null, 0x42fe0000, 0x42fe0000, v3
	v_div_scale_f32 v14, vcc_lo, v3, 0x42fe0000, v3
	v_rcp_f32_e32 v12, v4
	v_fma_f32 v5, -v4, v12, 1.0
	v_fmac_f32_e32 v12, v5, v12
	s_waitcnt lgkmcnt(0)
	v_add_f32_e32 v5, v2, v8
	v_mul_f32_e32 v15, v14, v12
	ds_bpermute_b32 v8, v1, v5
	v_fma_f32 v16, -v4, v15, v14
	v_fmac_f32_e32 v15, v16, v12
	v_fma_f32 v2, -v4, v15, v14
	v_div_fmas_f32 v2, v2, v12, v15
	v_mov_b32_e32 v12, 0
	v_div_fixup_f32 v4, v2, 0x42fe0000, v3
	v_add_co_u32 v2, s1, s2, v13
	v_add_co_ci_u32_e64 v3, null, s3, 0, s1
	v_cmpx_neq_f32_e32 0, v4
	s_cbranch_execz .LBB23_5
; %bb.4:
	v_div_scale_f32 v12, null, v4, v4, v7
	v_div_scale_f32 v13, null, v4, v4, v9
	;; [unrolled: 1-line block ×3, first 2 shown]
	v_rcp_f32_e32 v14, v12
	v_div_scale_f32 v16, null, v4, v4, v10
	v_rcp_f32_e32 v17, v13
	v_rcp_f32_e32 v18, v15
	v_div_scale_f32 v22, vcc_lo, v7, v4, v7
	v_rcp_f32_e32 v19, v16
	v_fma_f32 v20, -v12, v14, 1.0
	v_fma_f32 v21, -v13, v17, 1.0
	v_fma_f32 v23, -v15, v18, 1.0
	v_fmac_f32_e32 v14, v20, v14
	v_div_scale_f32 v20, s1, v9, v4, v9
	v_fma_f32 v24, -v16, v19, 1.0
	v_fmac_f32_e32 v17, v21, v17
	v_fmac_f32_e32 v18, v23, v18
	v_div_scale_f32 v21, s2, v11, v4, v11
	v_fmac_f32_e32 v19, v24, v19
	v_mul_f32_e32 v24, v22, v14
	v_mul_f32_e32 v25, v20, v17
	;; [unrolled: 1-line block ×3, first 2 shown]
	v_div_scale_f32 v23, s3, v10, v4, v10
	v_fma_f32 v28, -v12, v24, v22
	v_fma_f32 v29, -v13, v25, v20
	;; [unrolled: 1-line block ×3, first 2 shown]
	v_mul_f32_e32 v27, v23, v19
	v_fmac_f32_e32 v24, v28, v14
	v_fmac_f32_e32 v25, v29, v17
	;; [unrolled: 1-line block ×3, first 2 shown]
	v_fma_f32 v31, -v16, v27, v23
	v_fma_f32 v12, -v12, v24, v22
	;; [unrolled: 1-line block ×4, first 2 shown]
	v_fmac_f32_e32 v27, v31, v19
	v_div_fmas_f32 v12, v12, v14, v24
	s_mov_b32 vcc_lo, s1
	v_div_fmas_f32 v13, v13, v17, v25
	s_mov_b32 vcc_lo, s2
	v_div_fixup_f32 v7, v12, v4, v7
	v_div_fmas_f32 v14, v15, v18, v26
	v_fma_f32 v15, -v16, v27, v23
	s_mov_b32 vcc_lo, s3
	v_div_fixup_f32 v9, v13, v4, v9
	v_div_fixup_f32 v11, v14, v4, v11
	v_div_fmas_f32 v14, v15, v19, v27
	v_trunc_f32_e32 v13, v9
	v_trunc_f32_e32 v15, v11
	v_div_fixup_f32 v10, v14, v4, v10
	v_trunc_f32_e32 v14, v7
	v_sub_f32_e32 v17, v9, v13
	v_sub_f32_e32 v12, v11, v15
	v_trunc_f32_e32 v16, v10
	v_sub_f32_e32 v19, v7, v14
	v_cmp_ge_f32_e64 s1, |v12|, 0.5
	v_sub_f32_e32 v18, v10, v16
	v_cndmask_b32_e64 v12, 0, 1.0, s1
	v_cmp_ge_f32_e64 s1, |v17|, 0.5
	v_bfi_b32 v11, 0x7fffffff, v12, v11
	v_cndmask_b32_e64 v12, 0, 1.0, s1
	v_cmp_ge_f32_e64 s1, |v18|, 0.5
	v_add_f32_e32 v11, v15, v11
	v_bfi_b32 v9, 0x7fffffff, v12, v9
	v_cndmask_b32_e64 v17, 0, 1.0, s1
	v_cmp_ge_f32_e64 s1, |v19|, 0.5
	v_mov_b32_e32 v12, 8
	v_cvt_i32_f32_e32 v11, v11
	v_add_f32_e32 v9, v13, v9
	v_bfi_b32 v10, 0x7fffffff, v17, v10
	v_cndmask_b32_e64 v15, 0, 1.0, s1
	v_and_b32_e32 v11, 0xff, v11
	v_cvt_i32_f32_e32 v9, v9
	v_add_f32_e32 v10, v16, v10
	v_bfi_b32 v7, 0x7fffffff, v15, v7
	v_lshlrev_b32_e32 v11, 16, v11
	v_lshlrev_b32_sdwa v9, v12, v9 dst_sel:DWORD dst_unused:UNUSED_PAD src0_sel:DWORD src1_sel:BYTE_0
	v_cvt_i32_f32_e32 v10, v10
	v_add_f32_e32 v7, v14, v7
	v_lshl_or_b32 v10, v10, 24, v11
	v_cvt_i32_f32_e32 v7, v7
	v_and_b32_e32 v7, 0xff, v7
	v_or3_b32 v12, v10, v9, v7
.LBB23_5:
	s_or_b32 exec_lo, exec_lo, s18
	v_and_b32_e32 v9, 7, v33
	v_lshlrev_b32_e32 v7, 2, v33
	v_cmp_eq_u32_e64 s1, 0, v9
	ds_write_b32 v7, v12
	s_and_saveexec_b32 s2, s1
	s_cbranch_execz .LBB23_7
; %bb.6:
	s_waitcnt lgkmcnt(1)
	v_add_f32_e32 v5, v5, v8
	ds_write_b64 v33, v[4:5] offset:256
.LBB23_7:
	s_or_b32 exec_lo, exec_lo, s2
	global_load_dwordx4 v[9:12], v[2:3], off offset:512
	s_mov_b32 s18, exec_lo
	s_waitcnt vmcnt(0)
	v_mul_f32_e32 v3, s8, v9
	v_mul_f32_e32 v4, s8, v10
	s_waitcnt lgkmcnt(1)
	v_mul_f32_e32 v8, s8, v11
	v_mul_f32_e32 v5, s8, v12
	v_max_f32_e64 v2, |v3|, |v4|
	v_fma_f32 v9, s8, v9, v4
	v_max3_f32 v2, v2, |v8|, |v5|
	v_fmac_f32_e32 v9, s8, v11
	ds_bpermute_b32 v10, v0, v2
	v_fmac_f32_e32 v9, s8, v12
	ds_bpermute_b32 v0, v0, v9
	s_waitcnt lgkmcnt(1)
	v_max_f32_e32 v10, v10, v10
	v_max_f32_e32 v2, v2, v10
	s_waitcnt lgkmcnt(0)
	v_add_f32_e32 v0, v9, v0
	ds_bpermute_b32 v10, v6, v2
	ds_bpermute_b32 v6, v6, v0
	s_waitcnt lgkmcnt(1)
	v_max_f32_e32 v10, v10, v10
	s_waitcnt lgkmcnt(0)
	v_add_f32_e32 v0, v0, v6
	v_max_f32_e32 v2, v2, v10
	ds_bpermute_b32 v10, v1, v2
	ds_bpermute_b32 v1, v1, v0
	s_waitcnt lgkmcnt(1)
	v_max_f32_e32 v10, v10, v10
	v_max_f32_e32 v2, v2, v10
	v_div_scale_f32 v10, null, 0x42fe0000, 0x42fe0000, v2
	v_div_scale_f32 v12, vcc_lo, v2, 0x42fe0000, v2
	v_rcp_f32_e32 v11, v10
	v_fma_f32 v9, -v10, v11, 1.0
	v_fmac_f32_e32 v11, v9, v11
	v_mul_f32_e32 v9, v12, v11
	v_fma_f32 v13, -v10, v9, v12
	v_fmac_f32_e32 v9, v13, v11
	v_fma_f32 v6, -v10, v9, v12
	v_div_fmas_f32 v6, v6, v11, v9
	v_div_fixup_f32 v2, v6, 0x42fe0000, v2
	v_mov_b32_e32 v6, 0
	v_cmpx_neq_f32_e32 0, v2
	s_cbranch_execz .LBB23_9
; %bb.8:
	v_div_scale_f32 v6, null, v2, v2, v3
	v_div_scale_f32 v9, null, v2, v2, v4
	;; [unrolled: 1-line block ×3, first 2 shown]
	v_rcp_f32_e32 v10, v6
	v_div_scale_f32 v12, null, v2, v2, v5
	v_rcp_f32_e32 v13, v9
	v_rcp_f32_e32 v14, v11
	v_div_scale_f32 v18, vcc_lo, v3, v2, v3
	v_rcp_f32_e32 v15, v12
	v_fma_f32 v16, -v6, v10, 1.0
	v_fma_f32 v17, -v9, v13, 1.0
	;; [unrolled: 1-line block ×3, first 2 shown]
	v_fmac_f32_e32 v10, v16, v10
	v_div_scale_f32 v16, s2, v4, v2, v4
	v_fma_f32 v20, -v12, v15, 1.0
	v_fmac_f32_e32 v13, v17, v13
	v_fmac_f32_e32 v14, v19, v14
	v_div_scale_f32 v17, s3, v8, v2, v8
	v_fmac_f32_e32 v15, v20, v15
	v_mul_f32_e32 v20, v18, v10
	v_mul_f32_e32 v21, v16, v13
	;; [unrolled: 1-line block ×3, first 2 shown]
	v_div_scale_f32 v19, s8, v5, v2, v5
	v_fma_f32 v24, -v6, v20, v18
	v_fma_f32 v25, -v9, v21, v16
	;; [unrolled: 1-line block ×3, first 2 shown]
	v_mul_f32_e32 v23, v19, v15
	v_fmac_f32_e32 v20, v24, v10
	v_fmac_f32_e32 v21, v25, v13
	;; [unrolled: 1-line block ×3, first 2 shown]
	v_fma_f32 v27, -v12, v23, v19
	v_fma_f32 v6, -v6, v20, v18
	;; [unrolled: 1-line block ×4, first 2 shown]
	v_fmac_f32_e32 v23, v27, v15
	v_div_fmas_f32 v6, v6, v10, v20
	s_mov_b32 vcc_lo, s2
	v_div_fmas_f32 v9, v9, v13, v21
	s_mov_b32 vcc_lo, s3
	v_div_fixup_f32 v3, v6, v2, v3
	v_div_fmas_f32 v10, v11, v14, v22
	v_fma_f32 v11, -v12, v23, v19
	s_mov_b32 vcc_lo, s8
	v_div_fixup_f32 v4, v9, v2, v4
	v_div_fixup_f32 v8, v10, v2, v8
	v_div_fmas_f32 v10, v11, v15, v23
	v_trunc_f32_e32 v9, v4
	v_trunc_f32_e32 v11, v8
	v_div_fixup_f32 v5, v10, v2, v5
	v_trunc_f32_e32 v10, v3
	v_sub_f32_e32 v13, v4, v9
	v_sub_f32_e32 v6, v8, v11
	v_trunc_f32_e32 v12, v5
	v_sub_f32_e32 v15, v3, v10
	v_cmp_ge_f32_e64 s2, |v6|, 0.5
	v_sub_f32_e32 v14, v5, v12
	v_cndmask_b32_e64 v6, 0, 1.0, s2
	v_cmp_ge_f32_e64 s2, |v13|, 0.5
	v_bfi_b32 v6, 0x7fffffff, v6, v8
	v_cndmask_b32_e64 v8, 0, 1.0, s2
	v_cmp_ge_f32_e64 s2, |v14|, 0.5
	v_add_f32_e32 v6, v11, v6
	v_bfi_b32 v4, 0x7fffffff, v8, v4
	v_cndmask_b32_e64 v13, 0, 1.0, s2
	v_cmp_ge_f32_e64 s2, |v15|, 0.5
	v_mov_b32_e32 v8, 8
	v_cvt_i32_f32_e32 v6, v6
	v_add_f32_e32 v4, v9, v4
	v_bfi_b32 v5, 0x7fffffff, v13, v5
	v_cndmask_b32_e64 v11, 0, 1.0, s2
	v_and_b32_e32 v6, 0xff, v6
	v_cvt_i32_f32_e32 v4, v4
	v_add_f32_e32 v5, v12, v5
	v_bfi_b32 v3, 0x7fffffff, v11, v3
	v_lshlrev_b32_e32 v6, 16, v6
	v_lshlrev_b32_sdwa v4, v8, v4 dst_sel:DWORD dst_unused:UNUSED_PAD src0_sel:DWORD src1_sel:BYTE_0
	v_cvt_i32_f32_e32 v5, v5
	v_add_f32_e32 v3, v10, v3
	v_lshl_or_b32 v5, v5, 24, v6
	v_cvt_i32_f32_e32 v3, v3
	v_and_b32_e32 v3, 0xff, v3
	v_or3_b32 v6, v5, v4, v3
.LBB23_9:
	s_or_b32 exec_lo, exec_lo, s18
	ds_write_b32 v7, v6 offset:128
	s_and_b32 exec_lo, exec_lo, s1
	s_cbranch_execz .LBB23_11
; %bb.10:
	s_waitcnt lgkmcnt(1)
	v_add_f32_e32 v3, v0, v1
	ds_write_b64 v33, v[2:3] offset:288
.LBB23_11:
	s_or_b32 exec_lo, exec_lo, s11
	v_and_b32_e32 v18, 1, v33
	s_waitcnt lgkmcnt(0)
	s_waitcnt_vscnt null, 0x0
	s_barrier
	buffer_gl0_inv
	v_mov_b32_e32 v21, 0
	v_lshlrev_b32_e32 v0, 2, v18
	s_ashr_i32 s83, s82, 31
	s_ashr_i32 s1, s17, 31
	;; [unrolled: 1-line block ×3, first 2 shown]
	s_cmp_eq_u64 s[70:71], 0
	ds_read2_b32 v[1:2], v0 offset1:2
	s_waitcnt lgkmcnt(0)
	buffer_store_dword v1, off, s[96:99], 0 offset:20 ; 4-byte Folded Spill
	buffer_store_dword v2, off, s[96:99], 0 offset:24 ; 4-byte Folded Spill
	ds_read2_b32 v[1:2], v0 offset0:4 offset1:6
	s_waitcnt lgkmcnt(0)
	buffer_store_dword v1, off, s[96:99], 0 offset:28 ; 4-byte Folded Spill
	buffer_store_dword v2, off, s[96:99], 0 offset:32 ; 4-byte Folded Spill
	ds_read2_b32 v[1:2], v0 offset0:8 offset1:10
	;; [unrolled: 4-line block ×3, first 2 shown]
	s_waitcnt lgkmcnt(0)
	buffer_store_dword v1, off, s[96:99], 0 offset:44 ; 4-byte Folded Spill
	buffer_store_dword v2, off, s[96:99], 0 offset:48 ; 4-byte Folded Spill
	ds_read_b128 v[2:5], v21 offset:256
	ds_read_b128 v[6:9], v21 offset:272
	ds_read_b128 v[10:13], v21 offset:288
	ds_read_b128 v[14:17], v21 offset:304
	ds_read2_b32 v[19:20], v0 offset0:16 offset1:18
	s_waitcnt lgkmcnt(0)
	buffer_store_dword v19, off, s[96:99], 0 offset:52 ; 4-byte Folded Spill
	buffer_store_dword v20, off, s[96:99], 0 offset:56 ; 4-byte Folded Spill
	ds_read2_b32 v[19:20], v0 offset0:20 offset1:22
	s_waitcnt lgkmcnt(0)
	buffer_store_dword v19, off, s[96:99], 0 offset:60 ; 4-byte Folded Spill
	buffer_store_dword v20, off, s[96:99], 0 offset:64 ; 4-byte Folded Spill
	;; [unrolled: 4-line block ×12, first 2 shown]
	s_waitcnt_vscnt null, 0x0
	s_barrier
	buffer_gl0_inv
	s_cbranch_scc1 .LBB23_13
; %bb.12:
	s_load_dword s2, s[4:5], 0xd0
	s_mov_b32 s3, 0
	s_waitcnt lgkmcnt(0)
	s_mul_i32 s2, s2, s90
	s_add_i32 s2, s2, s6
	s_lshl_b64 s[2:3], s[2:3], 2
	s_add_u32 s2, s70, s2
	s_addc_u32 s3, s71, s3
	s_load_dword s84, s[2:3], 0x0
.LBB23_13:
	v_lshlrev_b32_e32 v1, 5, v32
	s_lshl_b32 s70, s7, 7
	s_mov_b32 s71, 0
	s_waitcnt lgkmcnt(0)
	s_cmp_ge_i32 s70, s84
	v_add_nc_u32_e32 v19, v1, v33
	v_lshlrev_b32_e32 v20, 1, v19
	buffer_store_dword v20, off, s[96:99], 0 offset:552 ; 4-byte Folded Spill
	v_lshlrev_b32_e32 v20, 2, v33
	s_cbranch_scc1 .LBB23_22
; %bb.14:
	buffer_store_dword v19, off, s[96:99], 0 offset:632 ; 4-byte Folded Spill
	buffer_store_dword v32, off, s[96:99], 0 offset:628 ; 4-byte Folded Spill
	s_clause 0x1
	s_load_dwordx4 s[76:79], s[4:5], 0x98
	s_load_dwordx2 s[88:89], s[4:5], 0x8c
	s_mul_i32 s18, s10, s14
	s_xor_b32 s17, s83, s1
	s_sub_i32 s16, s16, s18
	s_add_i32 s19, s10, 1
	s_sub_i32 s18, s16, s14
	s_mul_i32 s20, s9, s12
	s_clause 0x2
	s_load_dwordx2 s[2:3], s[4:5], 0xa8
	s_load_dwordx2 s[8:9], s[4:5], 0xc8
	s_load_dword s21, s[4:5], 0xd4
	s_mul_i32 s13, s13, s6
	v_and_b32_e32 v19, 0x7e, v33
	v_bfe_u32 v21, v33, 3, 27
	buffer_store_dword v20, off, s[96:99], 0 offset:636 ; 4-byte Folded Spill
	v_add_nc_u32_e32 v20, 0x80, v20
	v_cmp_eq_u32_e64 s1, 0, v18
	v_add_nc_u32_e32 v62, v1, v19
	v_mul_u32_u24_e32 v19, 18, v21
	buffer_store_dword v33, off, s[96:99], 0 offset:624 ; 4-byte Folded Spill
	v_lshrrev_b32_e32 v23, 5, v20
	v_and_b32_e32 v24, 12, v20
	s_waitcnt lgkmcnt(0)
	s_mul_hi_u32 s22, s76, s90
	s_mul_i32 s23, s76, s11
	s_mul_i32 s24, s77, s90
	s_add_i32 s85, s22, s23
	v_mul_hi_u32_u24_e32 v20, 18, v21
	s_add_i32 s85, s85, s24
	s_cmp_ge_u32 s16, s14
	v_lshlrev_b32_e32 v22, 1, v62
	s_cselect_b32 s10, s19, s10
	s_cselect_b32 s16, s18, s16
	s_add_i32 s18, s10, 1
	s_cmp_ge_u32 s16, s14
	v_mul_lo_u32 v25, v1, s78
	s_cselect_b32 s10, s18, s10
	s_sub_i32 s14, s15, s20
	s_xor_b32 s10, s10, s17
	v_mad_u64_u32 v[19:20], null, s2, s90, v[19:20]
	s_sub_i32 s91, s10, s17
	s_sub_i32 s10, s14, s12
	s_mul_i32 s89, s91, s89
	s_mul_i32 s91, s91, s79
	s_ashr_i32 s79, s89, 31
	s_ashr_i32 s92, s91, 31
	s_cmp_ge_u32 s14, s12
	s_mul_i32 s3, s3, s90
	s_cselect_b32 s10, s10, s14
	v_ashrrev_i32_e32 v26, 31, v25
	s_sub_i32 s14, s10, s12
	s_cmp_ge_u32 s10, s12
	v_mul_u32_u24_e32 v21, 18, v23
	s_cselect_b32 s10, s14, s10
	v_add_nc_u32_e32 v28, s78, v25
	s_xor_b32 s10, s10, s11
	v_mul_lo_u32 v62, v62, s88
	s_sub_i32 s10, s10, s11
	s_mov_b32 s87, s71
	s_ashr_i32 s12, s10, 31
	s_mul_hi_u32 s14, s8, s10
	s_mul_i32 s12, s8, s12
	s_mul_i32 s9, s9, s10
	s_add_i32 s12, s14, s12
	s_ashr_i32 s14, s13, 31
	s_add_i32 s12, s12, s9
	s_cmp_lg_u64 s[66:67], 0
	s_mul_i32 s10, s8, s10
	s_cselect_b32 s77, -1, 0
	s_lshl_b32 s86, s21, 7
	s_add_u32 s93, s62, s89
	s_addc_u32 s94, s63, s79
	s_lshl_b64 s[8:9], s[70:71], 1
	v_ashrrev_i32_e32 v33, 31, v28
	s_add_u32 s8, s10, s8
	s_addc_u32 s9, s12, s9
	s_add_u32 s10, s66, s13
	s_addc_u32 s12, s67, s14
	;; [unrolled: 2-line block ×3, first 2 shown]
	v_add_co_u32 v27, s8, s8, v22
	v_add_co_ci_u32_e64 v29, null, s9, 0, s8
	s_mul_i32 s8, s2, s11
	v_mul_hi_u32_u24_e32 v22, 18, v23
	s_add_i32 s8, s8, s3
	v_add_co_u32 v30, vcc_lo, v27, 2
	v_add_nc_u32_e32 v23, s8, v20
	v_add_co_ci_u32_e64 v31, null, 0, v29, vcc_lo
	v_add_co_u32 v92, vcc_lo, v19, v25
	v_mad_u64_u32 v[20:21], null, s2, s90, v[21:22]
	v_add_co_ci_u32_e64 v99, null, v23, v26, vcc_lo
	v_add_co_u32 v22, vcc_lo, v19, v24
	v_add_co_ci_u32_e64 v27, null, 0, v23, vcc_lo
	buffer_store_dword v30, off, s[96:99], 0 ; 4-byte Folded Spill
	buffer_store_dword v31, off, s[96:99], 0 offset:4 ; 4-byte Folded Spill
	v_add_co_u32 v18, vcc_lo, v22, v25
	v_add_nc_u32_e32 v21, s8, v21
	v_add_nc_u32_e32 v32, s78, v28
	buffer_store_dword v18, off, s[96:99], 0 offset:12 ; 4-byte Folded Spill
	v_add_co_ci_u32_e64 v18, null, v27, v26, vcc_lo
	v_add_co_u32 v24, vcc_lo, v20, v24
	v_add_co_ci_u32_e64 v29, null, 0, v21, vcc_lo
	buffer_store_dword v18, off, s[96:99], 0 offset:16 ; 4-byte Folded Spill
	v_add_co_u32 v18, vcc_lo, v20, v25
	v_ashrrev_i32_e32 v36, 31, v32
	v_add_nc_u32_e32 v37, s78, v32
	buffer_store_dword v18, off, s[96:99], 0 offset:148 ; 4-byte Folded Spill
	v_add_co_ci_u32_e64 v18, null, v21, v26, vcc_lo
	v_add_nc_u32_e32 v95, s78, v37
	v_ashrrev_i32_e32 v226, 31, v37
	buffer_store_dword v18, off, s[96:99], 0 offset:156 ; 4-byte Folded Spill
	v_add_co_u32 v18, vcc_lo, v24, v25
	v_add_nc_u32_e32 v87, s78, v95
	v_ashrrev_i32_e32 v224, 31, v95
	buffer_store_dword v18, off, s[96:99], 0 offset:160 ; 4-byte Folded Spill
	v_add_co_ci_u32_e64 v18, null, v29, v26, vcc_lo
	v_add_co_u32 v64, vcc_lo, v19, s91
	v_add_co_ci_u32_e64 v44, null, s92, v23, vcc_lo
	v_add_co_u32 v71, vcc_lo, v22, s91
	buffer_store_dword v18, off, s[96:99], 0 offset:164 ; 4-byte Folded Spill
	v_add_co_ci_u32_e64 v55, null, s92, v27, vcc_lo
	v_add_co_u32 v18, vcc_lo, v64, v28
	v_add_nc_u32_e32 v19, 31, v1
	v_add_nc_u32_e32 v79, s78, v87
	v_ashrrev_i32_e32 v193, 31, v87
	buffer_store_dword v18, off, s[96:99], 0 offset:184 ; 4-byte Folded Spill
	v_add_co_ci_u32_e64 v18, null, v44, v33, vcc_lo
	v_mul_lo_u32 v19, s78, v19
	v_add_nc_u32_e32 v72, s78, v79
	v_ashrrev_i32_e32 v192, 31, v79
	buffer_store_dword v18, off, s[96:99], 0 offset:188 ; 4-byte Folded Spill
	v_add_co_u32 v18, vcc_lo, v71, v28
	v_add_nc_u32_e32 v52, s78, v72
	v_ashrrev_i32_e32 v189, 31, v72
	v_add_co_u32 v127, s40, v71, v72
	buffer_store_dword v18, off, s[96:99], 0 offset:168 ; 4-byte Folded Spill
	v_add_co_ci_u32_e64 v18, null, v55, v33, vcc_lo
	v_add_co_u32 v74, vcc_lo, v20, s91
	v_add_co_ci_u32_e64 v60, null, s92, v21, vcc_lo
	v_add_co_u32 v75, vcc_lo, v24, s91
	buffer_store_dword v18, off, s[96:99], 0 offset:172 ; 4-byte Folded Spill
	v_add_co_ci_u32_e64 v63, null, s92, v29, vcc_lo
	v_add_co_u32 v18, vcc_lo, v74, v28
	v_ashrrev_i32_e32 v20, 31, v19
	v_add_nc_u32_e32 v21, 30, v1
	v_add_nc_u32_e32 v45, s78, v52
	buffer_store_dword v18, off, s[96:99], 0 offset:176 ; 4-byte Folded Spill
	v_add_co_ci_u32_e64 v18, null, v60, v33, vcc_lo
	v_mul_lo_u32 v21, s78, v21
	v_ashrrev_i32_e32 v180, 31, v45
	v_ashrrev_i32_e32 v181, 31, v52
	buffer_store_dword v18, off, s[96:99], 0 offset:180 ; 4-byte Folded Spill
	v_add_co_u32 v18, vcc_lo, v75, v28
	v_add_co_u32 v102, s30, v74, v45
	v_ashrrev_i32_e32 v22, 31, v21
	buffer_store_dword v18, off, s[96:99], 0 offset:192 ; 4-byte Folded Spill
	v_add_co_ci_u32_e64 v18, null, v63, v33, vcc_lo
	v_add_co_u32 v101, s31, v71, v45
	v_add_co_u32 v103, s33, v64, v45
	buffer_store_dword v18, off, s[96:99], 0 offset:196 ; 4-byte Folded Spill
	v_add_co_u32 v18, vcc_lo, v64, v32
	v_add_co_u32 v104, s35, v74, v52
	v_add_co_u32 v117, s36, v71, v52
	buffer_store_dword v18, off, s[96:99], 0 offset:200 ; 4-byte Folded Spill
	v_add_co_ci_u32_e64 v18, null, v44, v36, vcc_lo
	v_add_co_u32 v59, s37, v64, v52
	v_add_co_u32 v110, s39, v74, v72
	buffer_store_dword v18, off, s[96:99], 0 offset:204 ; 4-byte Folded Spill
	v_add_co_u32 v18, vcc_lo, v71, v32
	v_add_co_u32 v109, s41, v64, v72
	v_add_co_u32 v108, s43, v74, v79
	;; [unrolled: 8-line block ×4, first 2 shown]
	buffer_store_dword v18, off, s[96:99], 0 offset:216 ; 4-byte Folded Spill
	v_add_co_ci_u32_e64 v18, null, v63, v36, vcc_lo
	v_add_nc_u32_e32 v36, s78, v45
	v_add_co_u32 v137, s55, v74, v37
	buffer_store_dword v18, off, s[96:99], 0 offset:220 ; 4-byte Folded Spill
	v_add_co_u32 v18, vcc_lo, v75, v19
	v_add_nc_u32_e32 v25, s78, v36
	v_ashrrev_i32_e32 v179, 31, v36
	v_add_co_u32 v70, s26, v74, v36
	buffer_store_dword v18, off, s[96:99], 0 offset:264 ; 4-byte Folded Spill
	v_add_co_ci_u32_e64 v18, null, v63, v20, vcc_lo
	v_ashrrev_i32_e32 v178, 31, v25
	v_add_co_u32 v91, s22, v74, v25
	buffer_store_dword v18, off, s[96:99], 0 offset:268 ; 4-byte Folded Spill
	v_add_co_u32 v18, vcc_lo, v74, v19
	v_add_co_u32 v94, s23, v71, v25
	v_add_co_u32 v97, s24, v64, v25
	buffer_store_dword v18, off, s[96:99], 0 offset:240 ; 4-byte Folded Spill
	v_add_co_ci_u32_e64 v18, null, v60, v20, vcc_lo
	v_add_co_u32 v100, s27, v71, v36
	v_add_co_u32 v96, s28, v64, v36
	buffer_store_dword v18, off, s[96:99], 0 offset:244 ; 4-byte Folded Spill
	v_add_co_u32 v18, vcc_lo, v71, v19
	v_add_co_u32 v138, s57, v71, v37
	v_add_co_u32 v112, s59, v64, v37
	buffer_store_dword v18, off, s[96:99], 0 offset:256 ; 4-byte Folded Spill
	v_add_co_ci_u32_e64 v18, null, v55, v20, vcc_lo
	v_add_co_ci_u32_e64 v30, null, v44, v178, s24
	v_add_co_ci_u32_e64 v140, null, v44, v179, s28
	buffer_store_dword v18, off, s[96:99], 0 offset:260 ; 4-byte Folded Spill
	v_add_co_u32 v18, vcc_lo, v64, v19
	v_add_nc_u32_e32 v19, 29, v1
	v_add_co_ci_u32_e64 v115, null, v44, v180, s33
	buffer_store_dword v18, off, s[96:99], 0 offset:232 ; 4-byte Folded Spill
	v_add_co_ci_u32_e64 v18, null, v44, v20, vcc_lo
	v_mul_lo_u32 v19, s78, v19
	v_add_nc_u32_e32 v20, 28, v1
	v_add_co_ci_u32_e64 v119, null, v44, v181, s37
	buffer_store_dword v18, off, s[96:99], 0 offset:236 ; 4-byte Folded Spill
	v_add_co_u32 v18, vcc_lo, v75, v21
	v_mul_lo_u32 v20, s78, v20
	v_add_co_ci_u32_e64 v73, null, v44, v189, s41
	buffer_store_dword v18, off, s[96:99], 0 offset:248 ; 4-byte Folded Spill
	v_add_co_ci_u32_e64 v18, null, v63, v22, vcc_lo
	v_add_co_ci_u32_e64 v163, null, v44, v192, s45
	v_add_co_ci_u32_e64 v148, null, v44, v193, s49
	buffer_store_dword v18, off, s[96:99], 0 offset:252 ; 4-byte Folded Spill
	v_add_co_u32 v18, vcc_lo, v74, v21
	v_add_co_ci_u32_e64 v160, null, v44, v224, s53
	v_add_co_ci_u32_e64 v116, null, v44, v226, s59
	buffer_store_dword v18, off, s[96:99], 0 offset:272 ; 4-byte Folded Spill
	v_add_co_ci_u32_e64 v18, null, v60, v22, vcc_lo
	v_add_co_ci_u32_e64 v152, null, v55, v178, s23
	v_add_co_ci_u32_e64 v156, null, v55, v179, s27
	buffer_store_dword v18, off, s[96:99], 0 offset:276 ; 4-byte Folded Spill
	v_add_co_u32 v18, vcc_lo, v71, v21
	v_add_co_ci_u32_e64 v150, null, v55, v180, s31
	v_add_co_ci_u32_e64 v48, null, v55, v181, s36
	buffer_store_dword v18, off, s[96:99], 0 offset:280 ; 4-byte Folded Spill
	v_add_co_ci_u32_e64 v18, null, v55, v22, vcc_lo
	v_add_co_ci_u32_e64 v125, null, v55, v189, s40
	v_add_co_ci_u32_e64 v76, null, v55, v192, s44
	buffer_store_dword v18, off, s[96:99], 0 offset:284 ; 4-byte Folded Spill
	v_add_co_u32 v18, vcc_lo, v64, v21
	v_ashrrev_i32_e32 v21, 31, v19
	v_add_co_ci_u32_e64 v149, null, v55, v193, s48
	buffer_store_dword v18, off, s[96:99], 0 offset:288 ; 4-byte Folded Spill
	v_add_co_ci_u32_e64 v18, null, v44, v22, vcc_lo
	v_add_nc_u32_e32 v22, 27, v1
	v_add_co_ci_u32_e64 v147, null, v55, v224, s52
	buffer_store_dword v18, off, s[96:99], 0 offset:292 ; 4-byte Folded Spill
	v_add_co_u32 v18, vcc_lo, v75, v19
	v_add_co_ci_u32_e64 v58, null, v55, v226, s57
	v_add_co_u32 v93, s21, v75, v25
	buffer_store_dword v18, off, s[96:99], 0 offset:400 ; 4-byte Folded Spill
	v_add_co_ci_u32_e64 v18, null, v63, v21, vcc_lo
	v_add_co_u32 v98, s25, v75, v36
	v_add_co_u32 v80, s29, v75, v45
	buffer_store_dword v18, off, s[96:99], 0 offset:404 ; 4-byte Folded Spill
	v_add_co_u32 v18, vcc_lo, v74, v19
	v_add_co_u32 v88, s34, v75, v52
	v_add_co_u32 v124, s38, v75, v72
	buffer_store_dword v18, off, s[96:99], 0 offset:336 ; 4-byte Folded Spill
	v_add_co_ci_u32_e64 v18, null, v60, v21, vcc_lo
	v_add_co_u32 v107, s42, v75, v79
	v_add_co_u32 v120, s46, v75, v87
	buffer_store_dword v18, off, s[96:99], 0 offset:340 ; 4-byte Folded Spill
	v_add_co_u32 v18, vcc_lo, v71, v19
	v_add_co_u32 v159, s50, v75, v95
	v_add_co_u32 v135, s60, v75, v37
	buffer_store_dword v18, off, s[96:99], 0 offset:480 ; 4-byte Folded Spill
	v_add_co_ci_u32_e64 v18, null, v55, v21, vcc_lo
	v_add_co_ci_u32_e64 v151, null, v60, v179, s26
	v_add_co_ci_u32_e64 v139, null, v60, v180, s30
	buffer_store_dword v18, off, s[96:99], 0 offset:484 ; 4-byte Folded Spill
	v_add_co_u32 v18, vcc_lo, v64, v19
	v_ashrrev_i32_e32 v19, 31, v20
	v_add_co_ci_u32_e64 v118, null, v60, v181, s35
	buffer_store_dword v18, off, s[96:99], 0 offset:496 ; 4-byte Folded Spill
	v_add_co_ci_u32_e64 v18, null, v44, v21, vcc_lo
	v_add_co_u32 v182, vcc_lo, v75, v20
	v_add_co_ci_u32_e64 v188, null, v63, v19, vcc_lo
	buffer_store_dword v18, off, s[96:99], 0 offset:500 ; 4-byte Folded Spill
	v_add_co_u32 v18, vcc_lo, v74, v20
	v_mul_lo_u32 v21, s78, v22
	v_add_nc_u32_e32 v22, 26, v1
	v_add_co_ci_u32_e64 v57, null, v60, v189, s39
	buffer_store_dword v18, off, s[96:99], 0 offset:512 ; 4-byte Folded Spill
	v_add_co_ci_u32_e64 v18, null, v60, v19, vcc_lo
	v_add_co_u32 v184, vcc_lo, v71, v20
	v_add_co_ci_u32_e64 v183, null, v55, v19, vcc_lo
	v_add_co_u32 v187, vcc_lo, v64, v20
	v_add_co_ci_u32_e64 v186, null, v44, v19, vcc_lo
	v_ashrrev_i32_e32 v19, 31, v21
	v_mul_lo_u32 v20, s78, v22
	v_add_co_u32 v196, vcc_lo, v75, v21
	v_add_nc_u32_e32 v22, 25, v1
	v_add_co_ci_u32_e64 v167, null, v63, v19, vcc_lo
	v_add_co_u32 v190, vcc_lo, v74, v21
	v_add_co_ci_u32_e64 v194, null, v60, v19, vcc_lo
	v_add_co_u32 v166, vcc_lo, v71, v21
	v_add_co_ci_u32_e64 v195, null, v55, v19, vcc_lo
	v_add_co_u32 v199, vcc_lo, v64, v21
	v_add_co_ci_u32_e64 v198, null, v44, v19, vcc_lo
	v_ashrrev_i32_e32 v19, 31, v20
	v_mul_lo_u32 v21, s78, v22
	v_add_co_u32 v204, vcc_lo, v75, v20
	v_add_nc_u32_e32 v22, 24, v1
	v_add_co_ci_u32_e64 v169, null, v63, v19, vcc_lo
	v_add_co_u32 v197, vcc_lo, v74, v20
	v_add_co_ci_u32_e64 v191, null, v60, v19, vcc_lo
	v_add_co_u32 v203, vcc_lo, v71, v20
	v_add_co_ci_u32_e64 v200, null, v55, v19, vcc_lo
	v_add_co_u32 v207, vcc_lo, v64, v20
	v_add_co_ci_u32_e64 v205, null, v44, v19, vcc_lo
	v_ashrrev_i32_e32 v19, 31, v21
	v_mul_lo_u32 v20, s78, v22
	v_add_co_u32 v210, vcc_lo, v75, v21
	v_add_nc_u32_e32 v22, 23, v1
	v_add_co_ci_u32_e64 v212, null, v63, v19, vcc_lo
	v_add_co_u32 v185, vcc_lo, v74, v21
	v_add_co_ci_u32_e64 v206, null, v60, v19, vcc_lo
	v_add_co_u32 v211, vcc_lo, v71, v21
	v_add_co_ci_u32_e64 v208, null, v55, v19, vcc_lo
	v_add_co_u32 v215, vcc_lo, v64, v21
	v_add_co_ci_u32_e64 v213, null, v44, v19, vcc_lo
	v_ashrrev_i32_e32 v19, 31, v20
	v_mul_lo_u32 v21, s78, v22
	v_add_co_u32 v220, vcc_lo, v75, v20
	v_add_nc_u32_e32 v22, 22, v1
	v_add_co_ci_u32_e64 v218, null, v63, v19, vcc_lo
	v_add_co_u32 v214, vcc_lo, v74, v20
	v_add_co_ci_u32_e64 v209, null, v60, v19, vcc_lo
	v_add_co_u32 v216, vcc_lo, v71, v20
	v_add_co_ci_u32_e64 v219, null, v55, v19, vcc_lo
	v_add_co_u32 v221, vcc_lo, v64, v20
	v_add_co_ci_u32_e64 v223, null, v44, v19, vcc_lo
	v_ashrrev_i32_e32 v19, 31, v21
	v_mul_lo_u32 v20, s78, v22
	v_add_co_u32 v231, vcc_lo, v75, v21
	v_add_nc_u32_e32 v22, 21, v1
	v_add_co_ci_u32_e64 v232, null, v63, v19, vcc_lo
	v_add_co_u32 v222, vcc_lo, v74, v21
	v_add_co_ci_u32_e64 v202, null, v60, v19, vcc_lo
	v_add_co_u32 v228, vcc_lo, v71, v21
	v_add_co_ci_u32_e64 v227, null, v55, v19, vcc_lo
	v_add_co_u32 v230, vcc_lo, v64, v21
	v_add_co_ci_u32_e64 v201, null, v44, v19, vcc_lo
	v_ashrrev_i32_e32 v19, 31, v20
	v_mul_lo_u32 v21, s78, v22
	v_add_co_u32 v240, vcc_lo, v75, v20
	v_add_nc_u32_e32 v22, 20, v1
	v_add_co_ci_u32_e64 v238, null, v63, v19, vcc_lo
	v_add_co_u32 v236, vcc_lo, v74, v20
	v_add_co_ci_u32_e64 v235, null, v60, v19, vcc_lo
	v_add_co_u32 v237, vcc_lo, v71, v20
	v_add_co_ci_u32_e64 v239, null, v55, v19, vcc_lo
	v_add_co_u32 v245, vcc_lo, v64, v20
	v_ashrrev_i32_e32 v20, 31, v21
	v_add_co_ci_u32_e64 v242, null, v44, v19, vcc_lo
	v_add_co_u32 v243, vcc_lo, v74, v21
	v_add_co_u32 v247, s2, v71, v21
	v_add_co_u32 v241, s3, v64, v21
	;; [unrolled: 1-line block ×3, first 2 shown]
	v_mul_lo_u32 v19, s78, v22
	v_add_co_ci_u32_e64 v249, null, v63, v20, s8
	v_add_co_ci_u32_e64 v248, null, v60, v20, vcc_lo
	v_add_co_ci_u32_e64 v246, null, v55, v20, s2
	v_add_co_ci_u32_e64 v244, null, v44, v20, s3
	v_add_nc_u32_e32 v20, 19, v1
	v_ashrrev_i32_e32 v21, 31, v19
	v_add_co_u32 v253, vcc_lo, v74, v19
	v_add_co_u32 v255, s2, v71, v19
	v_mul_lo_u32 v20, s78, v20
	v_add_co_u32 v252, s3, v64, v19
	v_add_co_u32 v173, s8, v75, v19
	v_add_co_ci_u32_e64 v233, null, v63, v21, s8
	v_add_co_ci_u32_e64 v254, null, v60, v21, vcc_lo
	v_add_co_ci_u32_e64 v217, null, v55, v21, s2
	v_add_co_ci_u32_e64 v250, null, v44, v21, s3
	v_ashrrev_i32_e32 v19, 31, v20
	v_add_nc_u32_e32 v21, s78, v25
	v_add_co_u32 v234, vcc_lo, v74, v20
	v_add_co_u32 v171, s2, v71, v20
	v_add_co_u32 v172, s3, v64, v20
	;; [unrolled: 1-line block ×3, first 2 shown]
	v_add_co_ci_u32_e64 v67, null, v63, v19, s8
	v_add_co_ci_u32_e64 v69, null, v60, v19, vcc_lo
	v_add_co_ci_u32_e64 v68, null, v55, v19, s2
	v_add_co_ci_u32_e64 v168, null, v44, v19, s3
	v_add_nc_u32_e32 v19, s78, v21
	v_ashrrev_i32_e32 v177, 31, v21
	v_add_co_u32 v86, s18, v74, v21
	v_add_co_u32 v89, s19, v71, v21
	v_add_nc_u32_e32 v20, s78, v19
	v_ashrrev_i32_e32 v176, 31, v19
	v_add_co_u32 v82, s14, v74, v19
	v_add_co_u32 v85, s15, v71, v19
	;; [unrolled: 4-line block ×3, first 2 shown]
	v_add_co_u32 v33, s11, v71, v20
	v_add_co_u32 v81, s12, v64, v20
	buffer_load_dword v20, off, s[96:99], 0 offset:12 ; 4-byte Folded Reload
	v_add_nc_u32_e32 v170, s78, v22
	v_ashrrev_i32_e32 v174, 31, v22
	v_add_co_u32 v84, s16, v64, v19
	v_add_co_u32 v90, s20, v64, v21
	v_add_nc_u32_e32 v23, s78, v170
	v_ashrrev_i32_e32 v225, 31, v170
	v_add_co_u32 v121, s54, v74, v170
	v_add_co_ci_u32_e64 v164, null, v44, v175, s12
	v_add_nc_u32_e32 v24, s78, v23
	v_add_co_ci_u32_e64 v136, null, v44, v176, s16
	v_add_co_ci_u32_e64 v26, null, v44, v177, s20
	v_ashrrev_i32_e32 v28, 31, v24
	v_add_co_u32 v65, vcc_lo, v74, v24
	v_add_co_u32 v38, s2, v71, v24
	v_add_co_u32 v61, s3, v64, v24
	;; [unrolled: 1-line block ×3, first 2 shown]
	v_ashrrev_i32_e32 v24, 31, v23
	v_add_co_ci_u32_e64 v43, null, v63, v28, s8
	v_add_co_ci_u32_e64 v41, null, v55, v28, s2
	;; [unrolled: 1-line block ×3, first 2 shown]
	v_add_co_u32 v47, s2, v71, v23
	v_add_co_u32 v49, s3, v64, v23
	;; [unrolled: 1-line block ×3, first 2 shown]
	v_add_co_ci_u32_e64 v40, null, v60, v28, vcc_lo
	v_add_co_u32 v42, vcc_lo, v74, v23
	v_add_co_ci_u32_e64 v53, null, v63, v24, s8
	v_add_co_ci_u32_e64 v51, null, v55, v24, s2
	;; [unrolled: 1-line block ×3, first 2 shown]
	v_add_co_u32 v56, s2, v74, v22
	v_add_co_u32 v27, s3, v71, v22
	;; [unrolled: 1-line block ×5, first 2 shown]
	v_add_co_ci_u32_e64 v122, null, v44, v225, s58
	v_add_co_ci_u32_e64 v130, null, v44, v174, s8
	v_and_b32_e32 v44, 30, v34
	v_add_co_u32 v83, s13, v75, v19
	v_add_co_ci_u32_e64 v229, null, v55, v225, s56
	v_add_co_ci_u32_e64 v128, null, v55, v174, s3
	;; [unrolled: 1-line block ×5, first 2 shown]
	v_add_nc_u32_e32 v44, 2, v44
	v_xor_b32_e32 v55, 1, v34
	v_add_co_ci_u32_e64 v32, null, v60, v24, vcc_lo
	v_add_co_u32 v54, vcc_lo, v75, v22
	v_add_co_ci_u32_e64 v123, null, v63, v174, vcc_lo
	v_cmp_lt_i32_e32 vcc_lo, v55, v44
	v_add_co_u32 v46, s17, v75, v21
	v_add_co_u32 v37, s61, v75, v170
	v_cndmask_b32_e32 v44, v34, v55, vcc_lo
	v_xor_b32_e32 v55, 4, v34
	v_add_co_ci_u32_e64 v75, null, v60, v225, s54
	v_add_co_ci_u32_e64 v126, null, v60, v174, s2
	v_lshlrev_b32_e32 v44, 2, v44
	v_add_co_ci_u32_e64 v134, null, v60, v175, s10
	v_add_co_ci_u32_e64 v143, null, v60, v176, s14
	buffer_store_dword v44, off, s[96:99], 0 offset:152 ; 4-byte Folded Spill
	v_xor_b32_e32 v44, 2, v34
	v_add_co_ci_u32_e64 v24, null, v60, v177, s18
	v_add_co_ci_u32_e64 v28, null, v60, v178, s22
	v_cmp_gt_i32_e32 vcc_lo, 32, v44
	v_add_co_ci_u32_e64 v131, null, v60, v192, s43
	v_add_co_ci_u32_e64 v141, null, v60, v193, s47
	;; [unrolled: 1-line block ×4, first 2 shown]
	v_cndmask_b32_e32 v44, v34, v44, vcc_lo
	v_cmp_gt_i32_e32 vcc_lo, 32, v55
	v_xor_b32_e32 v60, 8, v34
	buffer_store_dword v18, off, s[96:99], 0 offset:516 ; 4-byte Folded Spill
	v_add_co_ci_u32_e64 v64, null, v63, v225, s61
	v_add_co_ci_u32_e64 v132, null, v63, v175, s9
	;; [unrolled: 1-line block ×13, first 2 shown]
	v_cndmask_b32_e32 v55, v34, v55, vcc_lo
	v_cmp_gt_i32_e32 vcc_lo, 32, v60
	v_xor_b32_e32 v63, 16, v34
	v_lshlrev_b32_e32 v1, 1, v1
	s_mul_i32 s12, s76, s90
	buffer_load_dword v22, off, s[96:99], 0 offset:176 ; 4-byte Folded Reload
	v_cndmask_b32_e32 v60, v34, v60, vcc_lo
	v_cmp_gt_i32_e32 vcc_lo, 32, v63
	buffer_store_dword v1, off, s[96:99], 0 offset:572 ; 4-byte Folded Spill
	v_add_nc_u32_e32 v1, s88, v62
	v_add_co_u32 v0, s2, s12, v0
	v_cndmask_b32_e32 v63, v34, v63, vcc_lo
	v_lshlrev_b32_e32 v34, 2, v44
	v_ashrrev_i32_e32 v44, 31, v1
	buffer_load_dword v36, off, s[96:99], 0 offset:240 ; 4-byte Folded Reload
	s_mul_i32 s8, s78, s70
	s_mul_i32 s9, s88, s70
	buffer_store_dword v34, off, s[96:99], 0 offset:556 ; 4-byte Folded Spill
	v_lshlrev_b32_e32 v34, 2, v55
	v_add_co_ci_u32_e64 v55, null, s85, 0, s2
	s_lshl_b64 s[2:3], s[86:87], 1
	s_add_u32 s13, s64, s91
	buffer_store_dword v34, off, s[96:99], 0 offset:560 ; 4-byte Folded Spill
	v_lshlrev_b32_e32 v34, 2, v60
	v_add_co_u32 v60, vcc_lo, v0, v1
	s_addc_u32 s14, s65, s92
	s_mul_i32 s10, s86, s88
	buffer_store_dword v34, off, s[96:99], 0 offset:564 ; 4-byte Folded Spill
	v_lshlrev_b32_e32 v34, 2, v63
	v_add_co_ci_u32_e64 v63, null, v55, v44, vcc_lo
	s_mul_i32 s11, s86, s78
	buffer_store_dword v34, off, s[96:99], 0 offset:568 ; 4-byte Folded Spill
	v_add_co_u32 v34, vcc_lo, s93, v60
	v_add_co_ci_u32_e64 v60, null, s94, v63, vcc_lo
	buffer_store_dword v60, off, s[96:99], 0 offset:8 ; 4-byte Folded Spill
	s_waitcnt vmcnt(2)
	v_add_co_u32 v60, vcc_lo, s13, v20
	buffer_load_dword v20, off, s[96:99], 0 offset:16 ; 4-byte Folded Reload
	s_waitcnt vmcnt(0)
	v_add_co_ci_u32_e64 v63, null, s14, v20, vcc_lo
	buffer_load_dword v20, off, s[96:99], 0 offset:160 ; 4-byte Folded Reload
	v_add_co_u32 v170, vcc_lo, s13, v92
	buffer_store_dword v170, off, s[96:99], 0 offset:296 ; 4-byte Folded Spill
	v_add_co_ci_u32_e64 v170, null, s14, v99, vcc_lo
	v_add_co_u32 v60, vcc_lo, v60, 2
	buffer_store_dword v170, off, s[96:99], 0 offset:300 ; 4-byte Folded Spill
	buffer_store_dword v60, off, s[96:99], 0 offset:304 ; 4-byte Folded Spill
	v_add_co_ci_u32_e64 v60, null, 0, v63, vcc_lo
	buffer_store_dword v60, off, s[96:99], 0 offset:308 ; 4-byte Folded Spill
	s_waitcnt vmcnt(0)
	v_add_co_u32 v60, vcc_lo, s13, v20
	buffer_load_dword v20, off, s[96:99], 0 offset:164 ; 4-byte Folded Reload
	s_waitcnt vmcnt(0)
	v_add_co_ci_u32_e64 v63, null, s14, v20, vcc_lo
	buffer_load_dword v20, off, s[96:99], 0 offset:148 ; 4-byte Folded Reload
	s_waitcnt vmcnt(0)
	v_add_co_u32 v170, vcc_lo, s13, v20
	buffer_load_dword v20, off, s[96:99], 0 offset:156 ; 4-byte Folded Reload
	s_add_u32 s13, s93, s12
	buffer_store_dword v170, off, s[96:99], 0 offset:312 ; 4-byte Folded Spill
	s_waitcnt vmcnt(0)
	v_add_co_ci_u32_e64 v170, null, s14, v20, vcc_lo
	buffer_load_dword v20, off, s[96:99], 0 offset:184 ; 4-byte Folded Reload
	v_add_co_u32 v60, vcc_lo, v60, 2
	s_addc_u32 s14, s94, s85
	s_add_u32 s12, s12, s89
	buffer_store_dword v170, off, s[96:99], 0 offset:316 ; 4-byte Folded Spill
	buffer_store_dword v60, off, s[96:99], 0 offset:320 ; 4-byte Folded Spill
	v_add_co_ci_u32_e64 v60, null, 0, v63, vcc_lo
	buffer_store_dword v60, off, s[96:99], 0 offset:324 ; 4-byte Folded Spill
	s_waitcnt vmcnt(0)
	v_add_co_u32 v60, vcc_lo, s64, v20
	buffer_load_dword v20, off, s[96:99], 0 offset:188 ; 4-byte Folded Reload
	buffer_store_dword v60, off, s[96:99], 0 offset:328 ; 4-byte Folded Spill
	s_waitcnt vmcnt(0)
	v_add_co_ci_u32_e64 v60, null, s65, v20, vcc_lo
	buffer_load_dword v20, off, s[96:99], 0 offset:168 ; 4-byte Folded Reload
	v_add_co_u32 v1, vcc_lo, s13, v1
	buffer_store_dword v60, off, s[96:99], 0 offset:332 ; 4-byte Folded Spill
	s_addc_u32 s13, s85, s79
	s_add_u32 s12, s62, s12
	buffer_store_dword v1, off, s[96:99], 0 offset:12 ; 4-byte Folded Spill
	v_add_co_ci_u32_e64 v1, null, s14, v44, vcc_lo
	v_add_co_u32 v0, vcc_lo, v0, s89
	v_ashrrev_i32_e32 v44, 31, v62
	buffer_store_dword v1, off, s[96:99], 0 offset:16 ; 4-byte Folded Spill
	v_add_co_ci_u32_e64 v1, null, s79, v55, vcc_lo
	v_add_co_u32 v0, vcc_lo, v0, v62
	s_addc_u32 s13, s63, s13
	v_add_co_ci_u32_e64 v1, null, v1, v44, vcc_lo
	s_waitcnt vmcnt(0)
	v_add_co_u32 v55, vcc_lo, s64, v20
	buffer_load_dword v20, off, s[96:99], 0 offset:172 ; 4-byte Folded Reload
	s_waitcnt vmcnt(0)
	v_add_co_ci_u32_e64 v60, null, s65, v20, vcc_lo
	v_add_co_u32 v20, vcc_lo, s62, v0
	v_add_co_ci_u32_e64 v21, null, s63, v1, vcc_lo
	v_add_co_u32 v0, vcc_lo, v55, 2
	buffer_load_dword v1, off, s[96:99], 0 offset:196 ; 4-byte Folded Reload
	buffer_store_dword v0, off, s[96:99], 0 offset:344 ; 4-byte Folded Spill
	v_add_co_ci_u32_e64 v0, null, 0, v60, vcc_lo
	buffer_store_dword v0, off, s[96:99], 0 offset:348 ; 4-byte Folded Spill
	buffer_load_dword v0, off, s[96:99], 0 offset:192 ; 4-byte Folded Reload
	s_waitcnt vmcnt(0)
	v_add_co_u32 v0, vcc_lo, s64, v0
	v_add_co_ci_u32_e64 v1, null, s65, v1, vcc_lo
	v_add_co_u32 v55, vcc_lo, s64, v22
	buffer_load_dword v22, off, s[96:99], 0 offset:180 ; 4-byte Folded Reload
	buffer_store_dword v55, off, s[96:99], 0 offset:352 ; 4-byte Folded Spill
	s_waitcnt vmcnt(0)
	v_add_co_ci_u32_e64 v55, null, s65, v22, vcc_lo
	v_add_co_u32 v0, vcc_lo, v0, 2
	buffer_store_dword v55, off, s[96:99], 0 offset:356 ; 4-byte Folded Spill
	buffer_store_dword v0, off, s[96:99], 0 offset:360 ; 4-byte Folded Spill
	v_add_co_ci_u32_e64 v0, null, 0, v1, vcc_lo
	s_clause 0x1
	buffer_load_dword v1, off, s[96:99], 0 offset:228
	buffer_load_dword v22, off, s[96:99], 0 offset:200
	buffer_store_dword v0, off, s[96:99], 0 offset:364 ; 4-byte Folded Spill
	buffer_load_dword v0, off, s[96:99], 0 offset:224 ; 4-byte Folded Reload
	s_waitcnt vmcnt(0)
	v_add_co_u32 v0, vcc_lo, s64, v0
	v_add_co_ci_u32_e64 v1, null, s65, v1, vcc_lo
	v_add_co_u32 v55, vcc_lo, s64, v22
	buffer_load_dword v22, off, s[96:99], 0 offset:204 ; 4-byte Folded Reload
	buffer_store_dword v55, off, s[96:99], 0 offset:368 ; 4-byte Folded Spill
	s_waitcnt vmcnt(0)
	v_add_co_ci_u32_e64 v55, null, s65, v22, vcc_lo
	v_add_co_u32 v0, vcc_lo, v0, 2
	buffer_store_dword v55, off, s[96:99], 0 offset:372 ; 4-byte Folded Spill
	buffer_store_dword v0, off, s[96:99], 0 offset:376 ; 4-byte Folded Spill
	v_add_co_ci_u32_e64 v0, null, 0, v1, vcc_lo
	s_clause 0x1
	buffer_load_dword v1, off, s[96:99], 0 offset:220
	buffer_load_dword v22, off, s[96:99], 0 offset:208
	buffer_store_dword v0, off, s[96:99], 0 offset:380 ; 4-byte Folded Spill
	buffer_load_dword v0, off, s[96:99], 0 offset:216 ; 4-byte Folded Reload
	s_waitcnt vmcnt(0)
	v_add_co_u32 v0, vcc_lo, s64, v0
	v_add_co_ci_u32_e64 v1, null, s65, v1, vcc_lo
	v_add_co_u32 v55, vcc_lo, s64, v22
	buffer_load_dword v22, off, s[96:99], 0 offset:212 ; 4-byte Folded Reload
	buffer_store_dword v55, off, s[96:99], 0 offset:384 ; 4-byte Folded Spill
	s_waitcnt vmcnt(0)
	v_add_co_ci_u32_e64 v55, null, s65, v22, vcc_lo
	buffer_load_dword v22, off, s[96:99], 0 offset:264 ; 4-byte Folded Reload
	v_add_co_u32 v0, vcc_lo, v0, 2
	buffer_store_dword v55, off, s[96:99], 0 offset:388 ; 4-byte Folded Spill
	buffer_store_dword v0, off, s[96:99], 0 offset:392 ; 4-byte Folded Spill
	v_add_co_ci_u32_e64 v0, null, 0, v1, vcc_lo
	buffer_store_dword v0, off, s[96:99], 0 offset:396 ; 4-byte Folded Spill
	v_add_co_u32 v0, vcc_lo, s12, v62
	v_add_co_ci_u32_e64 v1, null, s13, v44, vcc_lo
	s_waitcnt vmcnt(0)
	v_add_co_u32 v44, vcc_lo, s64, v22
	buffer_load_dword v22, off, s[96:99], 0 offset:268 ; 4-byte Folded Reload
	s_waitcnt vmcnt(0)
	v_add_co_ci_u32_e64 v55, null, s65, v22, vcc_lo
	v_add_co_u32 v22, vcc_lo, 0x7e, v0
	v_add_co_ci_u32_e64 v23, null, 0, v1, vcc_lo
	v_add_co_u32 v0, vcc_lo, v44, 2
	buffer_load_dword v1, off, s[96:99], 0 offset:260 ; 4-byte Folded Reload
	buffer_store_dword v0, off, s[96:99], 0 offset:408 ; 4-byte Folded Spill
	v_add_co_ci_u32_e64 v0, null, 0, v55, vcc_lo
	buffer_store_dword v0, off, s[96:99], 0 offset:412 ; 4-byte Folded Spill
	buffer_load_dword v0, off, s[96:99], 0 offset:256 ; 4-byte Folded Reload
	s_waitcnt vmcnt(0)
	v_add_co_u32 v0, vcc_lo, s64, v0
	v_add_co_ci_u32_e64 v1, null, s65, v1, vcc_lo
	v_add_co_u32 v44, vcc_lo, s64, v36
	buffer_load_dword v36, off, s[96:99], 0 offset:244 ; 4-byte Folded Reload
	buffer_store_dword v44, off, s[96:99], 0 offset:416 ; 4-byte Folded Spill
	s_waitcnt vmcnt(0)
	v_add_co_ci_u32_e64 v44, null, s65, v36, vcc_lo
	v_add_co_u32 v0, vcc_lo, v0, 2
	buffer_store_dword v44, off, s[96:99], 0 offset:420 ; 4-byte Folded Spill
	buffer_store_dword v0, off, s[96:99], 0 offset:424 ; 4-byte Folded Spill
	v_add_co_ci_u32_e64 v0, null, 0, v1, vcc_lo
	s_clause 0x1
	buffer_load_dword v1, off, s[96:99], 0 offset:252
	buffer_load_dword v36, off, s[96:99], 0 offset:232
	buffer_store_dword v0, off, s[96:99], 0 offset:428 ; 4-byte Folded Spill
	buffer_load_dword v0, off, s[96:99], 0 offset:248 ; 4-byte Folded Reload
	s_waitcnt vmcnt(0)
	v_add_co_u32 v0, vcc_lo, s64, v0
	v_add_co_ci_u32_e64 v1, null, s65, v1, vcc_lo
	v_add_co_u32 v44, vcc_lo, s64, v36
	buffer_load_dword v36, off, s[96:99], 0 offset:236 ; 4-byte Folded Reload
	buffer_store_dword v44, off, s[96:99], 0 offset:432 ; 4-byte Folded Spill
	s_waitcnt vmcnt(0)
	v_add_co_ci_u32_e64 v44, null, s65, v36, vcc_lo
	v_add_co_u32 v0, vcc_lo, v0, 2
	buffer_store_dword v44, off, s[96:99], 0 offset:436 ; 4-byte Folded Spill
	buffer_store_dword v0, off, s[96:99], 0 offset:440 ; 4-byte Folded Spill
	v_add_co_ci_u32_e64 v0, null, 0, v1, vcc_lo
	s_clause 0x1
	buffer_load_dword v1, off, s[96:99], 0 offset:284
	buffer_load_dword v36, off, s[96:99], 0 offset:272
	;; [unrolled: 17-line block ×4, first 2 shown]
	buffer_store_dword v0, off, s[96:99], 0 offset:476 ; 4-byte Folded Spill
	buffer_load_dword v0, off, s[96:99], 0 offset:480 ; 4-byte Folded Reload
	s_waitcnt vmcnt(0)
	v_add_co_u32 v0, vcc_lo, s64, v0
	v_add_co_ci_u32_e64 v1, null, s65, v1, vcc_lo
	v_add_co_u32 v44, vcc_lo, s64, v36
	buffer_load_dword v36, off, s[96:99], 0 offset:340 ; 4-byte Folded Reload
	buffer_store_dword v44, off, s[96:99], 0 offset:480 ; 4-byte Folded Spill
	s_waitcnt vmcnt(0)
	v_add_co_ci_u32_e64 v44, null, s65, v36, vcc_lo
	buffer_load_dword v36, off, s[96:99], 0 offset:496 ; 4-byte Folded Reload
	v_add_co_u32 v0, vcc_lo, v0, 2
	buffer_store_dword v44, off, s[96:99], 0 offset:484 ; 4-byte Folded Spill
	buffer_store_dword v0, off, s[96:99], 0 offset:488 ; 4-byte Folded Spill
	v_add_co_ci_u32_e64 v0, null, 0, v1, vcc_lo
	buffer_store_dword v0, off, s[96:99], 0 offset:492 ; 4-byte Folded Spill
	v_add_co_u32 v0, vcc_lo, s64, v182
	v_add_co_ci_u32_e64 v1, null, s65, v188, vcc_lo
	s_waitcnt vmcnt(0)
	v_add_co_u32 v44, vcc_lo, s64, v36
	buffer_load_dword v36, off, s[96:99], 0 offset:500 ; 4-byte Folded Reload
	buffer_store_dword v44, off, s[96:99], 0 offset:496 ; 4-byte Folded Spill
	s_waitcnt vmcnt(0)
	v_add_co_ci_u32_e64 v44, null, s65, v36, vcc_lo
	buffer_load_dword v36, off, s[96:99], 0 offset:512 ; 4-byte Folded Reload
	v_add_co_u32 v0, vcc_lo, v0, 2
	buffer_store_dword v44, off, s[96:99], 0 offset:500 ; 4-byte Folded Spill
	buffer_store_dword v0, off, s[96:99], 0 offset:504 ; 4-byte Folded Spill
	v_add_co_ci_u32_e64 v0, null, 0, v1, vcc_lo
	buffer_store_dword v0, off, s[96:99], 0 offset:508 ; 4-byte Folded Spill
	v_add_co_u32 v0, vcc_lo, s64, v184
	v_add_co_ci_u32_e64 v1, null, s65, v183, vcc_lo
	s_waitcnt vmcnt(0)
	v_add_co_u32 v44, vcc_lo, s64, v36
	buffer_load_dword v36, off, s[96:99], 0 offset:516 ; 4-byte Folded Reload
	buffer_store_dword v44, off, s[96:99], 0 offset:512 ; 4-byte Folded Spill
	s_waitcnt vmcnt(0)
	v_add_co_ci_u32_e64 v44, null, s65, v36, vcc_lo
	v_add_co_u32 v0, vcc_lo, v0, 2
	buffer_store_dword v44, off, s[96:99], 0 offset:516 ; 4-byte Folded Spill
	buffer_store_dword v0, off, s[96:99], 0 offset:520 ; 4-byte Folded Spill
	v_add_co_ci_u32_e64 v0, null, 0, v1, vcc_lo
	buffer_store_dword v0, off, s[96:99], 0 offset:156 ; 4-byte Folded Spill
	v_add_co_u32 v0, vcc_lo, s64, v196
	v_add_co_ci_u32_e64 v1, null, s65, v167, vcc_lo
	v_add_co_u32 v44, vcc_lo, s64, v187
	buffer_store_dword v44, off, s[96:99], 0 offset:160 ; 4-byte Folded Spill
	v_add_co_ci_u32_e64 v44, null, s65, v186, vcc_lo
	v_add_co_u32 v0, vcc_lo, v0, 2
	v_add_co_ci_u32_e64 v170, null, 0, v1, vcc_lo
	buffer_store_dword v44, off, s[96:99], 0 offset:164 ; 4-byte Folded Spill
	buffer_store_dword v0, off, s[96:99], 0 offset:216 ; 4-byte Folded Spill
	v_add_co_u32 v0, vcc_lo, s64, v166
	v_mov_b32_e32 v166, v34
	v_add_co_ci_u32_e64 v1, null, s65, v195, vcc_lo
	v_add_co_u32 v34, vcc_lo, s64, v190
	buffer_store_dword v34, off, s[96:99], 0 offset:168 ; 4-byte Folded Spill
	v_add_co_ci_u32_e64 v34, null, s65, v194, vcc_lo
	v_add_co_u32 v0, vcc_lo, v0, 2
	v_add_co_ci_u32_e64 v174, null, 0, v1, vcc_lo
	buffer_store_dword v34, off, s[96:99], 0 offset:172 ; 4-byte Folded Spill
	buffer_store_dword v0, off, s[96:99], 0 offset:176 ; 4-byte Folded Spill
	v_add_co_u32 v0, vcc_lo, s64, v204
	v_add_co_ci_u32_e64 v1, null, s65, v169, vcc_lo
	v_add_co_u32 v175, vcc_lo, s64, v199
	v_add_co_ci_u32_e64 v176, null, s65, v198, vcc_lo
	;; [unrolled: 2-line block ×6, first 2 shown]
	buffer_store_dword v0, off, s[96:99], 0 offset:180 ; 4-byte Folded Spill
	v_add_co_u32 v0, vcc_lo, s64, v210
	v_add_co_ci_u32_e64 v1, null, s65, v212, vcc_lo
	v_add_co_u32 v34, vcc_lo, s64, v207
	buffer_store_dword v34, off, s[96:99], 0 offset:184 ; 4-byte Folded Spill
	v_add_co_ci_u32_e64 v34, null, s65, v205, vcc_lo
	v_add_co_u32 v0, vcc_lo, v0, 2
	buffer_store_dword v34, off, s[96:99], 0 offset:188 ; 4-byte Folded Spill
	buffer_store_dword v0, off, s[96:99], 0 offset:192 ; 4-byte Folded Spill
	v_add_co_ci_u32_e64 v0, null, 0, v1, vcc_lo
	buffer_store_dword v0, off, s[96:99], 0 offset:196 ; 4-byte Folded Spill
	v_add_co_u32 v0, vcc_lo, s64, v211
	v_add_co_ci_u32_e64 v1, null, s65, v208, vcc_lo
	v_add_co_u32 v34, vcc_lo, s64, v185
	v_mov_b32_e32 v208, 0xfeffffff
	buffer_store_dword v34, off, s[96:99], 0 offset:200 ; 4-byte Folded Spill
	v_add_co_ci_u32_e64 v34, null, s65, v206, vcc_lo
	v_add_co_u32 v189, vcc_lo, v0, 2
	v_add_co_ci_u32_e64 v0, null, 0, v1, vcc_lo
	buffer_store_dword v34, off, s[96:99], 0 offset:204 ; 4-byte Folded Spill
	buffer_store_dword v0, off, s[96:99], 0 offset:208 ; 4-byte Folded Spill
	v_add_co_u32 v0, vcc_lo, s64, v220
	v_add_co_ci_u32_e64 v1, null, s65, v218, vcc_lo
	v_add_co_u32 v34, vcc_lo, s64, v215
	buffer_store_dword v34, off, s[96:99], 0 offset:212 ; 4-byte Folded Spill
	v_add_co_ci_u32_e64 v34, null, s65, v213, vcc_lo
	v_add_co_u32 v167, vcc_lo, v0, 2
	v_add_co_ci_u32_e64 v193, null, 0, v1, vcc_lo
	v_add_co_u32 v0, vcc_lo, s64, v216
	buffer_store_dword v34, off, s[96:99], 0 offset:220 ; 4-byte Folded Spill
	v_add_co_ci_u32_e64 v1, null, s65, v219, vcc_lo
	v_add_co_u32 v34, vcc_lo, s64, v214
	buffer_store_dword v34, off, s[96:99], 0 offset:224 ; 4-byte Folded Spill
	;; [unrolled: 3-line block ×3, first 2 shown]
	buffer_store_dword v0, off, s[96:99], 0 offset:232 ; 4-byte Folded Spill
	v_add_co_ci_u32_e64 v0, null, 0, v1, vcc_lo
	buffer_store_dword v0, off, s[96:99], 0 offset:236 ; 4-byte Folded Spill
	v_add_co_u32 v0, vcc_lo, s64, v231
	v_add_co_ci_u32_e64 v1, null, s65, v232, vcc_lo
	v_add_co_u32 v34, vcc_lo, s64, v221
	buffer_store_dword v34, off, s[96:99], 0 offset:240 ; 4-byte Folded Spill
	v_add_co_ci_u32_e64 v34, null, s65, v223, vcc_lo
	v_add_co_u32 v0, vcc_lo, v0, 2
	buffer_store_dword v34, off, s[96:99], 0 offset:244 ; 4-byte Folded Spill
	buffer_store_dword v0, off, s[96:99], 0 offset:248 ; 4-byte Folded Spill
	v_add_co_ci_u32_e64 v0, null, 0, v1, vcc_lo
	buffer_store_dword v0, off, s[96:99], 0 offset:252 ; 4-byte Folded Spill
	v_add_co_u32 v0, vcc_lo, s64, v228
	v_add_co_ci_u32_e64 v1, null, s65, v227, vcc_lo
	v_add_co_u32 v34, vcc_lo, s64, v222
	buffer_store_dword v34, off, s[96:99], 0 offset:256 ; 4-byte Folded Spill
	v_add_co_ci_u32_e64 v34, null, s65, v202, vcc_lo
	v_add_co_u32 v0, vcc_lo, v0, 2
	buffer_store_dword v34, off, s[96:99], 0 offset:260 ; 4-byte Folded Spill
	;; [unrolled: 10-line block ×3, first 2 shown]
	buffer_store_dword v0, off, s[96:99], 0 offset:280 ; 4-byte Folded Spill
	v_add_co_ci_u32_e64 v0, null, 0, v1, vcc_lo
	buffer_store_dword v0, off, s[96:99], 0 offset:284 ; 4-byte Folded Spill
	v_add_co_u32 v0, vcc_lo, s64, v237
	v_add_co_ci_u32_e64 v1, null, s65, v239, vcc_lo
	v_add_co_u32 v34, vcc_lo, s64, v236
	v_add_co_ci_u32_e64 v212, null, s65, v235, vcc_lo
	;; [unrolled: 2-line block ×49, first 2 shown]
	v_add_co_u32 v33, vcc_lo, s64, v78
	buffer_store_dword v34, off, s[96:99], 0 offset:288 ; 4-byte Folded Spill
	v_add_co_ci_u32_e64 v34, null, s65, v134, vcc_lo
	v_add_co_u32 v35, vcc_lo, v0, 2
	v_add_co_ci_u32_e64 v36, null, 0, v1, vcc_lo
	v_add_co_u32 v0, vcc_lo, s64, v83
	;; [unrolled: 2-line block ×67, first 2 shown]
	v_mov_b32_e32 v18, v20
	v_mov_b32_e32 v20, 0
	v_add_co_ci_u32_e64 v204, null, 0, v19, vcc_lo
	v_add_co_u32 v205, vcc_lo, s64, v112
	buffer_store_dword v20, off, s[96:99], 0 offset:148 ; 4-byte Folded Spill
	buffer_load_dword v20, off, s[96:99], 0 offset:624 ; 4-byte Folded Reload
	v_mov_b32_e32 v19, v21
	v_add_co_ci_u32_e64 v210, null, s65, v116, vcc_lo
	v_mov_b32_e32 v106, 0x10001
	s_waitcnt vmcnt(0)
	v_and_b32_e32 v105, 4, v20
	v_mov_b32_e32 v20, 0
	buffer_store_dword v20, off, s[96:99], 0 offset:532 ; 4-byte Folded Spill
	v_mov_b32_e32 v20, 0
	buffer_store_dword v20, off, s[96:99], 0 offset:536 ; 4-byte Folded Spill
	v_mov_b32_e32 v20, 0
	buffer_store_dword v20, off, s[96:99], 0 offset:540 ; 4-byte Folded Spill
	v_mov_b32_e32 v20, 0
	buffer_store_dword v20, off, s[96:99], 0 offset:544 ; 4-byte Folded Spill
	buffer_store_dword v2, off, s[96:99], 0 offset:576 ; 4-byte Folded Spill
	buffer_store_dword v3, off, s[96:99], 0 offset:580 ; 4-byte Folded Spill
	;; [unrolled: 1-line block ×12, first 2 shown]
.LBB23_15:                              ; =>This Inner Loop Header: Depth=1
	v_add_co_u32 v20, vcc_lo, v18, s9
	v_add_co_ci_u32_e64 v21, null, 0, v19, vcc_lo
	buffer_store_dword v59, off, s[96:99], 0 offset:524 ; 4-byte Folded Spill
	buffer_store_dword v18, off, s[96:99], 0 offset:336 ; 4-byte Folded Spill
	;; [unrolled: 1-line block ×3, first 2 shown]
	v_mov_b32_e32 v124, 0
	s_clause 0x9
	global_load_dword v18, v[20:21], off offset:2
	global_load_dword v19, v[20:21], off offset:10
	;; [unrolled: 1-line block ×10, first 2 shown]
	buffer_store_dword v22, off, s[96:99], 0 offset:400 ; 4-byte Folded Spill
	v_add_co_u32 v22, vcc_lo, v22, s9
	buffer_store_dword v23, off, s[96:99], 0 offset:404 ; 4-byte Folded Spill
	v_add_co_ci_u32_e64 v23, null, 0, v23, vcc_lo
	global_load_dword v113, v[20:21], off offset:92
	global_load_ushort v114, v[22:23], off offset:-126
	global_load_dword v115, v[20:21], off offset:100
	s_clause 0x1
	global_load_ushort v116, v[22:23], off offset:-108
	global_load_ushort v117, v[22:23], off offset:-90
	global_load_dword v118, v[20:21], off offset:110
	global_load_ushort v119, v[22:23], off offset:-72
	global_load_dword v120, v[20:21], off offset:118
	global_load_ushort v121, v[22:23], off offset:-54
	global_load_dword v122, v[20:21], off offset:128
	global_load_ushort v123, v[22:23], off offset:-36
	global_load_dword v20, v[20:21], off offset:136
	s_clause 0x1
	global_load_ushort v21, v[22:23], off offset:-18
	global_load_ushort v22, v[22:23], off
	s_clause 0x1
	buffer_load_dword v164, off, s[96:99], 0 offset:20
	buffer_load_dword v165, off, s[96:99], 0 offset:24
	v_mov_b32_e32 v23, 0
	v_mov_b32_e32 v125, 0
	;; [unrolled: 1-line block ×31, first 2 shown]
	s_and_b32 vcc_lo, exec_lo, s77
	s_waitcnt vmcnt(25)
	v_and_b32_e32 v156, 0xf0f0f0f, v18
	s_waitcnt vmcnt(24)
	v_and_b32_e32 v157, 0xf0f0f0f, v19
	v_lshrrev_b32_e32 v18, 4, v18
	v_lshrrev_b32_e32 v19, 4, v19
	s_waitcnt vmcnt(23)
	v_and_b32_e32 v158, 0xf0f0f0f, v24
	s_waitcnt vmcnt(22)
	v_and_b32_e32 v159, 0xf0f0f0f, v25
	v_lshrrev_b32_e32 v24, 4, v24
	v_and_b32_e32 v18, 0xf0f0f0f, v18
	v_and_b32_e32 v19, 0xf0f0f0f, v19
	v_lshrrev_b32_e32 v25, 4, v25
	s_waitcnt vmcnt(21)
	v_and_b32_e32 v160, 0xf0f0f0f, v107
	s_waitcnt vmcnt(20)
	v_and_b32_e32 v161, 0xf0f0f0f, v108
	v_lshrrev_b32_e32 v108, 4, v108
	s_waitcnt vmcnt(18)
	v_and_b32_e32 v163, 0xf0f0f0f, v110
	v_and_b32_e32 v25, 0xf0f0f0f, v25
	v_lshrrev_b32_e32 v107, 4, v107
	v_and_b32_e32 v162, 0xf0f0f0f, v109
	v_lshrrev_b32_e32 v109, 4, v109
	s_waitcnt vmcnt(1)
	v_dot4c_i32_i8 v23, v156, v164
	s_waitcnt vmcnt(0)
	v_dot4c_i32_i8 v124, v157, v165
	s_clause 0x1
	buffer_load_dword v164, off, s[96:99], 0 offset:28
	buffer_load_dword v165, off, s[96:99], 0 offset:32
	v_and_b32_e32 v157, 0xf0f0f0f, v112
	v_lshrrev_b32_e32 v110, 4, v110
	v_cvt_f32_i32_e32 v23, v23
	v_cvt_f32_i32_e32 v124, v124
	v_and_b32_e32 v156, 0xf0f0f0f, v111
	v_lshrrev_b32_e32 v111, 4, v111
	s_waitcnt vmcnt(1)
	v_dot4c_i32_i8 v125, v18, v164
	s_waitcnt vmcnt(0)
	v_dot4c_i32_i8 v126, v19, v165
	s_clause 0x1
	buffer_load_dword v164, off, s[96:99], 0 offset:36
	buffer_load_dword v165, off, s[96:99], 0 offset:40
	v_fma_f32 v18, v2, v23, -v3
	v_fma_f32 v19, v2, v124, -v3
	v_cvt_f32_i32_e32 v124, v125
	v_cvt_f32_i32_e32 v126, v126
	v_and_b32_e32 v23, 0xf0f0f0f, v113
	v_fma_mix_f32 v18, v18, v114, 0 op_sel_hi:[0,1,0]
	v_and_b32_e32 v125, 0xf0f0f0f, v115
	v_fma_f32 v124, v2, v124, -v3
	v_fma_f32 v126, v2, v126, -v3
	v_fma_mix_f32 v18, v19, v114, v18 op_sel_hi:[0,1,0]
	v_and_b32_e32 v19, 0xf0f0f0f, v24
	v_fma_mix_f32 v18, v124, v114, v18 op_sel_hi:[0,1,0]
	v_fma_mix_f32 v18, v126, v114, v18 op_sel_hi:[0,1,0]
	s_waitcnt vmcnt(1)
	v_dot4c_i32_i8 v127, v158, v164
	s_waitcnt vmcnt(0)
	v_dot4c_i32_i8 v128, v159, v165
	s_clause 0x1
	buffer_load_dword v158, off, s[96:99], 0 offset:44
	buffer_load_dword v159, off, s[96:99], 0 offset:48
	v_cvt_f32_i32_e32 v24, v127
	s_clause 0x1
	buffer_load_dword v126, off, s[96:99], 0 offset:52
	buffer_load_dword v127, off, s[96:99], 0 offset:56
	v_fma_f32 v24, v4, v24, -v5
	v_fma_mix_f32 v18, v24, v116, v18 op_sel_hi:[0,1,0]
	v_lshrrev_b32_e32 v24, 4, v112
	v_and_b32_e32 v24, 0xf0f0f0f, v24
	s_waitcnt vmcnt(3)
	v_dot4c_i32_i8 v130, v19, v158
	v_cvt_f32_i32_e32 v19, v128
	s_waitcnt vmcnt(2)
	v_dot4c_i32_i8 v131, v25, v159
	s_waitcnt vmcnt(1)
	v_dot4c_i32_i8 v132, v160, v126
	v_cvt_f32_i32_e32 v25, v130
	v_fma_f32 v19, v4, v19, -v5
	v_cvt_f32_i32_e32 v112, v131
	s_waitcnt vmcnt(0)
	v_dot4c_i32_i8 v133, v161, v127
	s_clause 0x1
	buffer_load_dword v126, off, s[96:99], 0 offset:60
	buffer_load_dword v127, off, s[96:99], 0 offset:64
	v_fma_f32 v25, v4, v25, -v5
	v_fma_mix_f32 v18, v19, v116, v18 op_sel_hi:[0,1,0]
	v_fma_f32 v112, v4, v112, -v5
	v_and_b32_e32 v19, 0xf0f0f0f, v107
	v_cvt_f32_i32_e32 v107, v132
	v_fma_mix_f32 v18, v25, v116, v18 op_sel_hi:[0,1,0]
	v_and_b32_e32 v25, 0xf0f0f0f, v108
	v_lshrrev_b32_e32 v108, 4, v113
	v_fma_f32 v107, v6, v107, -v7
	v_fma_mix_f32 v18, v112, v116, v18 op_sel_hi:[0,1,0]
	s_clause 0x1
	buffer_load_dword v112, off, s[96:99], 0 offset:68
	buffer_load_dword v113, off, s[96:99], 0 offset:72
	v_fma_mix_f32 v18, v107, v117, v18 op_sel_hi:[0,1,0]
	v_lshrrev_b32_e32 v107, 4, v115
	s_waitcnt vmcnt(3)
	v_dot4c_i32_i8 v134, v19, v126
	v_cvt_f32_i32_e32 v19, v133
	s_waitcnt vmcnt(2)
	v_dot4c_i32_i8 v135, v25, v127
	v_cvt_f32_i32_e32 v25, v134
	v_fma_f32 v19, v6, v19, -v7
	v_fma_f32 v25, v6, v25, -v7
	v_fma_mix_f32 v18, v19, v117, v18 op_sel_hi:[0,1,0]
	v_and_b32_e32 v19, 0xf0f0f0f, v109
	s_waitcnt vmcnt(1)
	v_dot4c_i32_i8 v136, v162, v112
	s_waitcnt vmcnt(0)
	v_dot4c_i32_i8 v137, v163, v113
	s_clause 0x1
	buffer_load_dword v113, off, s[96:99], 0 offset:76
	buffer_load_dword v114, off, s[96:99], 0 offset:80
	v_cvt_f32_i32_e32 v112, v135
	v_fma_mix_f32 v18, v25, v117, v18 op_sel_hi:[0,1,0]
	v_and_b32_e32 v25, 0xf0f0f0f, v110
	v_cvt_f32_i32_e32 v109, v136
	v_and_b32_e32 v110, 0xf0f0f0f, v118
	v_fma_f32 v112, v6, v112, -v7
	v_fma_f32 v109, v8, v109, -v9
	v_fma_mix_f32 v18, v112, v117, v18 op_sel_hi:[0,1,0]
	v_fma_mix_f32 v18, v109, v119, v18 op_sel_hi:[0,1,0]
	v_and_b32_e32 v109, 0xf0f0f0f, v120
	s_waitcnt vmcnt(1)
	v_dot4c_i32_i8 v138, v19, v113
	s_clause 0x1
	buffer_load_dword v112, off, s[96:99], 0 offset:84
	buffer_load_dword v113, off, s[96:99], 0 offset:88
	s_waitcnt vmcnt(2)
	v_dot4c_i32_i8 v139, v25, v114
	v_cvt_f32_i32_e32 v19, v137
	v_cvt_f32_i32_e32 v25, v138
	v_fma_f32 v19, v8, v19, -v9
	v_fma_f32 v25, v8, v25, -v9
	v_fma_mix_f32 v18, v19, v119, v18 op_sel_hi:[0,1,0]
	v_and_b32_e32 v19, 0xf0f0f0f, v111
	v_fma_mix_f32 v18, v25, v119, v18 op_sel_hi:[0,1,0]
	s_waitcnt vmcnt(1)
	v_dot4c_i32_i8 v140, v156, v112
	s_waitcnt vmcnt(0)
	v_dot4c_i32_i8 v141, v157, v113
	s_clause 0x1
	buffer_load_dword v113, off, s[96:99], 0 offset:92
	buffer_load_dword v114, off, s[96:99], 0 offset:96
	v_cvt_f32_i32_e32 v112, v139
	v_cvt_f32_i32_e32 v111, v140
	v_fma_f32 v112, v8, v112, -v9
	v_fma_f32 v25, v10, v111, -v11
	v_lshrrev_b32_e32 v111, 4, v118
	v_fma_mix_f32 v18, v112, v119, v18 op_sel_hi:[0,1,0]
	v_fma_mix_f32 v18, v25, v121, v18 op_sel_hi:[0,1,0]
	v_lshrrev_b32_e32 v25, 4, v120
	v_and_b32_e32 v25, 0xf0f0f0f, v25
	s_waitcnt vmcnt(1)
	v_dot4c_i32_i8 v144, v19, v113
	s_clause 0x1
	buffer_load_dword v112, off, s[96:99], 0 offset:100
	buffer_load_dword v113, off, s[96:99], 0 offset:104
	v_cvt_f32_i32_e32 v19, v141
	s_waitcnt vmcnt(2)
	v_dot4c_i32_i8 v145, v24, v114
	v_cvt_f32_i32_e32 v24, v144
	v_fma_f32 v19, v10, v19, -v11
	v_fma_f32 v24, v10, v24, -v11
	v_fma_mix_f32 v18, v19, v121, v18 op_sel_hi:[0,1,0]
	v_and_b32_e32 v19, 0xf0f0f0f, v108
	v_fma_mix_f32 v18, v24, v121, v18 op_sel_hi:[0,1,0]
	v_and_b32_e32 v24, 0xf0f0f0f, v107
	s_waitcnt vmcnt(1)
	v_dot4c_i32_i8 v142, v23, v112
	s_waitcnt vmcnt(0)
	v_dot4c_i32_i8 v143, v125, v113
	s_clause 0x1
	buffer_load_dword v112, off, s[96:99], 0 offset:108
	buffer_load_dword v113, off, s[96:99], 0 offset:112
	v_cvt_f32_i32_e32 v23, v145
	v_cvt_f32_i32_e32 v108, v142
	;; [unrolled: 1-line block ×3, first 2 shown]
	v_fma_f32 v23, v10, v23, -v11
	v_fma_mix_f32 v18, v23, v121, v18 op_sel_hi:[0,1,0]
	v_and_b32_e32 v23, 0xf0f0f0f, v122
	s_waitcnt vmcnt(1)
	v_dot4c_i32_i8 v146, v19, v112
	s_waitcnt vmcnt(0)
	v_dot4c_i32_i8 v147, v24, v113
	s_clause 0x1
	buffer_load_dword v112, off, s[96:99], 0 offset:116
	buffer_load_dword v113, off, s[96:99], 0 offset:120
	v_fma_f32 v19, v12, v108, -v13
	v_fma_f32 v24, v12, v107, -v13
	v_cvt_f32_i32_e32 v107, v146
	v_cvt_f32_i32_e32 v108, v147
	v_fma_mix_f32 v18, v19, v123, v18 op_sel_hi:[0,1,0]
	v_and_b32_e32 v19, 0xf0f0f0f, v20
	v_fma_f32 v107, v12, v107, -v13
	v_fma_f32 v108, v12, v108, -v13
	v_lshrrev_b32_e32 v20, 4, v20
	v_fma_mix_f32 v18, v24, v123, v18 op_sel_hi:[0,1,0]
	v_and_b32_e32 v24, 0xf0f0f0f, v111
	v_and_b32_e32 v20, 0xf0f0f0f, v20
	v_fma_mix_f32 v18, v107, v123, v18 op_sel_hi:[0,1,0]
	v_fma_mix_f32 v18, v108, v123, v18 op_sel_hi:[0,1,0]
	v_lshrrev_b32_e32 v108, 4, v122
	s_waitcnt vmcnt(1)
	v_dot4c_i32_i8 v148, v110, v112
	s_clause 0x1
	buffer_load_dword v110, off, s[96:99], 0 offset:124
	buffer_load_dword v111, off, s[96:99], 0 offset:128
	s_waitcnt vmcnt(2)
	v_dot4c_i32_i8 v149, v109, v113
	v_cvt_f32_i32_e32 v109, v148
	v_cvt_f32_i32_e32 v107, v149
	s_waitcnt vmcnt(1)
	v_dot4c_i32_i8 v150, v24, v110
	v_fma_f32 v24, v14, v109, -v15
	s_clause 0x1
	buffer_load_dword v109, off, s[96:99], 0 offset:132
	buffer_load_dword v110, off, s[96:99], 0 offset:136
	s_waitcnt vmcnt(2)
	v_dot4c_i32_i8 v151, v25, v111
	v_fma_f32 v25, v14, v107, -v15
	v_cvt_f32_i32_e32 v107, v150
	v_fma_mix_f32 v18, v24, v21, v18 op_sel_hi:[0,1,0]
	v_fma_f32 v24, v14, v107, -v15
	v_fma_mix_f32 v18, v25, v21, v18 op_sel_hi:[0,1,0]
	v_fma_mix_f32 v18, v24, v21, v18 op_sel_hi:[0,1,0]
	s_waitcnt vmcnt(1)
	v_dot4c_i32_i8 v152, v23, v109
	s_waitcnt vmcnt(0)
	v_dot4c_i32_i8 v153, v19, v110
	v_and_b32_e32 v19, 0xf0f0f0f, v108
	s_clause 0x1
	buffer_load_dword v107, off, s[96:99], 0 offset:140
	buffer_load_dword v108, off, s[96:99], 0 offset:144
	v_cvt_f32_i32_e32 v23, v151
	v_cvt_f32_i32_e32 v25, v152
	;; [unrolled: 1-line block ×3, first 2 shown]
	v_fma_f32 v23, v14, v23, -v15
	v_fma_mix_f32 v18, v23, v21, v18 op_sel_hi:[0,1,0]
	s_waitcnt vmcnt(1)
	v_dot4c_i32_i8 v154, v19, v107
	v_fma_f32 v19, v16, v25, -v17
	s_waitcnt vmcnt(0)
	v_dot4c_i32_i8 v155, v20, v108
	v_fma_f32 v20, v16, v24, -v17
	v_cvt_f32_i32_e32 v21, v154
	v_fma_mix_f32 v18, v19, v22, v18 op_sel_hi:[0,1,0]
	v_cvt_f32_i32_e32 v19, v155
	v_fma_f32 v21, v16, v21, -v17
	v_fma_mix_f32 v18, v20, v22, v18 op_sel_hi:[0,1,0]
	v_fma_f32 v19, v16, v19, -v17
	v_fma_mix_f32 v18, v21, v22, v18 op_sel_hi:[0,1,0]
	v_fma_mix_f32 v18, v19, v22, v18 op_sel_hi:[0,1,0]
	buffer_load_dword v19, off, s[96:99], 0 offset:152 ; 4-byte Folded Reload
	s_waitcnt vmcnt(0)
	ds_bpermute_b32 v19, v19, v18
	s_waitcnt lgkmcnt(0)
	v_add_f32_e32 v18, v18, v19
	s_cbranch_vccz .LBB23_17
; %bb.16:                               ;   in Loop: Header=BB23_15 Depth=1
	s_clause 0x2
	buffer_load_dword v58, off, s[96:99], 0
	buffer_load_dword v59, off, s[96:99], 0 offset:4
	buffer_load_dword v20, off, s[96:99], 0 offset:548
	s_waitcnt vmcnt(1)
	global_load_ushort v19, v[58:59], off offset:-2
	s_waitcnt vmcnt(0)
	v_fma_mix_f32 v18, v20, v19, v18 op_sel_hi:[0,1,0]
	s_branch .LBB23_18
.LBB23_17:                              ;   in Loop: Header=BB23_15 Depth=1
	s_clause 0x1
	buffer_load_dword v58, off, s[96:99], 0
	buffer_load_dword v59, off, s[96:99], 0 offset:4
.LBB23_18:                              ;   in Loop: Header=BB23_15 Depth=1
	buffer_load_dword v20, off, s[96:99], 0 offset:8 ; 4-byte Folded Reload
	v_add_co_u32 v19, vcc_lo, v166, s9
	buffer_store_dword v166, off, s[96:99], 0 offset:292 ; 4-byte Folded Spill
	v_mov_b32_e32 v125, 0
	v_mov_b32_e32 v126, 0
	;; [unrolled: 1-line block ×31, first 2 shown]
	s_waitcnt vmcnt(0)
	v_add_co_ci_u32_e64 v20, null, 0, v20, vcc_lo
	s_clause 0x8
	global_load_dword v23, v[19:20], off offset:2
	global_load_dword v24, v[19:20], off offset:10
	;; [unrolled: 1-line block ×9, first 2 shown]
	s_clause 0x1
	buffer_load_dword v21, off, s[96:99], 0 offset:12
	buffer_load_dword v22, off, s[96:99], 0 offset:16
	s_waitcnt vmcnt(10)
	v_and_b32_e32 v157, 0xf0f0f0f, v23
	s_waitcnt vmcnt(9)
	v_and_b32_e32 v158, 0xf0f0f0f, v24
	v_lshrrev_b32_e32 v23, 4, v23
	v_lshrrev_b32_e32 v24, 4, v24
	s_waitcnt vmcnt(8)
	v_and_b32_e32 v159, 0xf0f0f0f, v25
	v_lshrrev_b32_e32 v25, 4, v25
	s_waitcnt vmcnt(7)
	v_and_b32_e32 v160, 0xf0f0f0f, v107
	v_and_b32_e32 v23, 0xf0f0f0f, v23
	;; [unrolled: 1-line block ×3, first 2 shown]
	s_waitcnt vmcnt(1)
	v_add_co_u32 v21, vcc_lo, v21, s9
	s_waitcnt vmcnt(0)
	v_add_co_ci_u32_e64 v22, null, 0, v22, vcc_lo
	v_lshrrev_b32_e32 v107, 4, v107
	global_load_dword v113, v[19:20], off offset:82
	s_clause 0x1
	global_load_ushort v114, v[21:22], off
	global_load_ushort v115, v[21:22], off offset:18
	s_clause 0x1
	global_load_dword v116, v[19:20], off offset:92
	global_load_dword v117, v[19:20], off offset:100
	s_clause 0x1
	global_load_ushort v118, v[21:22], off offset:36
	global_load_ushort v119, v[21:22], off offset:54
	s_clause 0x1
	global_load_dword v120, v[19:20], off offset:110
	global_load_dword v121, v[19:20], off offset:118
	s_clause 0x1
	global_load_ushort v122, v[21:22], off offset:72
	;; [unrolled: 6-line block ×3, first 2 shown]
	global_load_ushort v21, v[21:22], off offset:126
	s_clause 0x1
	buffer_load_dword v165, off, s[96:99], 0 offset:20
	buffer_load_dword v166, off, s[96:99], 0 offset:24
	v_mov_b32_e32 v22, 0
	v_and_b32_e32 v107, 0xf0f0f0f, v107
	v_and_b32_e32 v161, 0xf0f0f0f, v108
	;; [unrolled: 1-line block ×3, first 2 shown]
	v_lshrrev_b32_e32 v108, 4, v108
	v_and_b32_e32 v164, 0xf0f0f0f, v111
	v_lshrrev_b32_e32 v109, 4, v109
	v_and_b32_e32 v163, 0xf0f0f0f, v110
	v_lshrrev_b32_e32 v110, 4, v110
	v_lshrrev_b32_e32 v111, 4, v111
	s_andn2_b32 vcc_lo, exec_lo, s77
	v_and_b32_e32 v109, 0xf0f0f0f, v109
	v_and_b32_e32 v111, 0xf0f0f0f, v111
	s_waitcnt vmcnt(1)
	v_dot4c_i32_i8 v22, v157, v165
	s_waitcnt vmcnt(0)
	v_dot4c_i32_i8 v125, v158, v166
	s_clause 0x1
	buffer_load_dword v165, off, s[96:99], 0 offset:28
	buffer_load_dword v166, off, s[96:99], 0 offset:32
	v_and_b32_e32 v157, 0xf0f0f0f, v112
	v_lshrrev_b32_e32 v112, 4, v112
	v_cvt_f32_i32_e32 v22, v22
	v_cvt_f32_i32_e32 v125, v125
	v_fma_f32 v22, v2, v22, -v3
	v_fma_mix_f32 v22, v22, v114, 0 op_sel_hi:[0,1,0]
	s_waitcnt vmcnt(1)
	v_dot4c_i32_i8 v126, v23, v165
	s_waitcnt vmcnt(0)
	v_dot4c_i32_i8 v127, v24, v166
	s_clause 0x1
	buffer_load_dword v165, off, s[96:99], 0 offset:36
	buffer_load_dword v166, off, s[96:99], 0 offset:40
	v_fma_f32 v24, v2, v125, -v3
	v_and_b32_e32 v23, 0xf0f0f0f, v113
	v_cvt_f32_i32_e32 v125, v126
	v_cvt_f32_i32_e32 v126, v127
	v_fma_mix_f32 v22, v24, v114, v22 op_sel_hi:[0,1,0]
	v_and_b32_e32 v24, 0xf0f0f0f, v25
	v_fma_f32 v125, v2, v125, -v3
	v_fma_f32 v126, v2, v126, -v3
	v_fma_mix_f32 v22, v125, v114, v22 op_sel_hi:[0,1,0]
	v_fma_mix_f32 v22, v126, v114, v22 op_sel_hi:[0,1,0]
	s_waitcnt vmcnt(1)
	v_dot4c_i32_i8 v128, v159, v165
	s_waitcnt vmcnt(0)
	v_dot4c_i32_i8 v130, v160, v166
	v_cvt_f32_i32_e32 v25, v128
	s_clause 0x1
	buffer_load_dword v127, off, s[96:99], 0 offset:44
	buffer_load_dword v128, off, s[96:99], 0 offset:48
	v_cvt_f32_i32_e32 v125, v130
	s_waitcnt vmcnt(1)
	v_dot4c_i32_i8 v131, v24, v127
	s_waitcnt vmcnt(0)
	v_dot4c_i32_i8 v132, v107, v128
	v_fma_f32 v107, v4, v125, -v5
	s_clause 0x1
	buffer_load_dword v125, off, s[96:99], 0 offset:52
	buffer_load_dword v126, off, s[96:99], 0 offset:56
	v_fma_f32 v24, v4, v25, -v5
	v_lshrrev_b32_e32 v25, 4, v113
	v_cvt_f32_i32_e32 v113, v131
	v_cvt_f32_i32_e32 v114, v132
	v_fma_mix_f32 v22, v24, v115, v22 op_sel_hi:[0,1,0]
	v_and_b32_e32 v24, 0xf0f0f0f, v116
	v_fma_f32 v113, v4, v113, -v5
	v_fma_f32 v114, v4, v114, -v5
	v_and_b32_e32 v25, 0xf0f0f0f, v25
	v_fma_mix_f32 v22, v107, v115, v22 op_sel_hi:[0,1,0]
	v_and_b32_e32 v107, 0xf0f0f0f, v108
	v_fma_mix_f32 v22, v113, v115, v22 op_sel_hi:[0,1,0]
	v_fma_mix_f32 v22, v114, v115, v22 op_sel_hi:[0,1,0]
	s_waitcnt vmcnt(1)
	v_dot4c_i32_i8 v133, v161, v125
	s_waitcnt vmcnt(0)
	v_dot4c_i32_i8 v134, v162, v126
	s_clause 0x3
	buffer_load_dword v125, off, s[96:99], 0 offset:60
	buffer_load_dword v126, off, s[96:99], 0 offset:64
	;; [unrolled: 1-line block ×4, first 2 shown]
	v_cvt_f32_i32_e32 v108, v133
	v_cvt_f32_i32_e32 v113, v134
	s_waitcnt vmcnt(3)
	v_dot4c_i32_i8 v135, v107, v125
	v_fma_f32 v107, v6, v108, -v7
	s_waitcnt vmcnt(0)
	v_dot4c_i32_i8 v138, v164, v115
	v_dot4c_i32_i8 v136, v109, v126
	v_fma_f32 v109, v6, v113, -v7
	v_cvt_f32_i32_e32 v113, v135
	v_fma_mix_f32 v22, v107, v118, v22 op_sel_hi:[0,1,0]
	v_lshrrev_b32_e32 v107, 4, v116
	s_clause 0x1
	buffer_load_dword v115, off, s[96:99], 0 offset:76
	buffer_load_dword v116, off, s[96:99], 0 offset:80
	v_dot4c_i32_i8 v137, v163, v114
	v_cvt_f32_i32_e32 v114, v136
	v_fma_f32 v113, v6, v113, -v7
	v_fma_mix_f32 v22, v109, v118, v22 op_sel_hi:[0,1,0]
	v_and_b32_e32 v109, 0xf0f0f0f, v110
	v_cvt_f32_i32_e32 v110, v137
	v_fma_f32 v114, v6, v114, -v7
	v_and_b32_e32 v108, 0xf0f0f0f, v117
	v_fma_mix_f32 v22, v113, v118, v22 op_sel_hi:[0,1,0]
	v_cvt_f32_i32_e32 v113, v138
	v_fma_mix_f32 v22, v114, v118, v22 op_sel_hi:[0,1,0]
	s_waitcnt vmcnt(1)
	v_dot4c_i32_i8 v139, v109, v115
	s_clause 0x1
	buffer_load_dword v114, off, s[96:99], 0 offset:84
	buffer_load_dword v115, off, s[96:99], 0 offset:88
	s_waitcnt vmcnt(2)
	v_dot4c_i32_i8 v140, v111, v116
	v_fma_f32 v109, v8, v110, -v9
	v_fma_f32 v111, v8, v113, -v9
	v_cvt_f32_i32_e32 v113, v139
	v_lshrrev_b32_e32 v110, 4, v117
	v_fma_mix_f32 v22, v109, v119, v22 op_sel_hi:[0,1,0]
	v_and_b32_e32 v109, 0xf0f0f0f, v120
	v_fma_f32 v113, v8, v113, -v9
	v_fma_mix_f32 v22, v111, v119, v22 op_sel_hi:[0,1,0]
	v_fma_mix_f32 v22, v113, v119, v22 op_sel_hi:[0,1,0]
	s_waitcnt vmcnt(1)
	v_dot4c_i32_i8 v141, v157, v114
	v_cvt_f32_i32_e32 v114, v140
	s_waitcnt vmcnt(0)
	v_dot4c_i32_i8 v142, v23, v115
	v_and_b32_e32 v23, 0xf0f0f0f, v112
	v_cvt_f32_i32_e32 v111, v141
	v_fma_f32 v112, v8, v114, -v9
	s_clause 0x1
	buffer_load_dword v114, off, s[96:99], 0 offset:92
	buffer_load_dword v115, off, s[96:99], 0 offset:96
	v_cvt_f32_i32_e32 v113, v142
	v_fma_mix_f32 v22, v112, v119, v22 op_sel_hi:[0,1,0]
	s_waitcnt vmcnt(1)
	v_dot4c_i32_i8 v143, v23, v114
	s_waitcnt vmcnt(0)
	v_dot4c_i32_i8 v144, v25, v115
	v_fma_f32 v25, v10, v113, -v11
	s_clause 0x1
	buffer_load_dword v113, off, s[96:99], 0 offset:100
	buffer_load_dword v114, off, s[96:99], 0 offset:104
	v_fma_f32 v23, v10, v111, -v11
	v_cvt_f32_i32_e32 v112, v143
	v_and_b32_e32 v111, 0xf0f0f0f, v121
	v_fma_mix_f32 v22, v23, v122, v22 op_sel_hi:[0,1,0]
	v_fma_f32 v112, v10, v112, -v11
	v_lshrrev_b32_e32 v23, 4, v120
	v_fma_mix_f32 v22, v25, v122, v22 op_sel_hi:[0,1,0]
	v_and_b32_e32 v25, 0xf0f0f0f, v107
	v_and_b32_e32 v23, 0xf0f0f0f, v23
	v_fma_mix_f32 v22, v112, v122, v22 op_sel_hi:[0,1,0]
	s_waitcnt vmcnt(1)
	v_dot4c_i32_i8 v145, v24, v113
	s_clause 0x1
	buffer_load_dword v112, off, s[96:99], 0 offset:108
	buffer_load_dword v113, off, s[96:99], 0 offset:112
	s_waitcnt vmcnt(2)
	v_dot4c_i32_i8 v146, v108, v114
	v_and_b32_e32 v108, 0xf0f0f0f, v110
	v_cvt_f32_i32_e32 v24, v144
	v_cvt_f32_i32_e32 v107, v145
	;; [unrolled: 1-line block ×3, first 2 shown]
	v_fma_f32 v24, v10, v24, -v11
	v_fma_mix_f32 v22, v24, v122, v22 op_sel_hi:[0,1,0]
	v_lshrrev_b32_e32 v24, 4, v121
	v_and_b32_e32 v24, 0xf0f0f0f, v24
	s_waitcnt vmcnt(1)
	v_dot4c_i32_i8 v147, v25, v112
	s_waitcnt vmcnt(0)
	v_dot4c_i32_i8 v148, v108, v113
	s_clause 0x1
	buffer_load_dword v112, off, s[96:99], 0 offset:116
	buffer_load_dword v113, off, s[96:99], 0 offset:120
	v_fma_f32 v25, v12, v107, -v13
	v_fma_f32 v107, v12, v110, -v13
	v_cvt_f32_i32_e32 v108, v147
	v_fma_mix_f32 v22, v25, v123, v22 op_sel_hi:[0,1,0]
	v_and_b32_e32 v25, 0xf0f0f0f, v124
	v_fma_f32 v108, v12, v108, -v13
	v_fma_mix_f32 v22, v107, v123, v22 op_sel_hi:[0,1,0]
	v_fma_mix_f32 v22, v108, v123, v22 op_sel_hi:[0,1,0]
	s_waitcnt vmcnt(1)
	v_dot4c_i32_i8 v149, v109, v112
	s_waitcnt vmcnt(0)
	v_dot4c_i32_i8 v150, v111, v113
	s_clause 0x1
	buffer_load_dword v110, off, s[96:99], 0 offset:124
	buffer_load_dword v111, off, s[96:99], 0 offset:128
	v_cvt_f32_i32_e32 v109, v148
	v_cvt_f32_i32_e32 v107, v149
	v_cvt_f32_i32_e32 v108, v150
	v_fma_f32 v109, v12, v109, -v13
	v_fma_mix_f32 v22, v109, v123, v22 op_sel_hi:[0,1,0]
	s_waitcnt vmcnt(1)
	v_dot4c_i32_i8 v151, v23, v110
	s_clause 0x1
	buffer_load_dword v109, off, s[96:99], 0 offset:132
	buffer_load_dword v110, off, s[96:99], 0 offset:136
	v_fma_f32 v23, v14, v107, -v15
	s_waitcnt vmcnt(2)
	v_dot4c_i32_i8 v152, v24, v111
	v_fma_f32 v24, v14, v108, -v15
	v_cvt_f32_i32_e32 v108, v151
	v_and_b32_e32 v107, 0xf0f0f0f, v19
	v_fma_mix_f32 v22, v23, v20, v22 op_sel_hi:[0,1,0]
	v_lshrrev_b32_e32 v23, 4, v124
	v_lshrrev_b32_e32 v19, 4, v19
	v_fma_f32 v108, v14, v108, -v15
	v_fma_mix_f32 v22, v24, v20, v22 op_sel_hi:[0,1,0]
	v_and_b32_e32 v23, 0xf0f0f0f, v23
	v_and_b32_e32 v19, 0xf0f0f0f, v19
	v_fma_mix_f32 v22, v108, v20, v22 op_sel_hi:[0,1,0]
	s_waitcnt vmcnt(1)
	v_dot4c_i32_i8 v153, v25, v109
	s_clause 0x1
	buffer_load_dword v108, off, s[96:99], 0 offset:140
	buffer_load_dword v109, off, s[96:99], 0 offset:144
	v_cvt_f32_i32_e32 v25, v152
	s_waitcnt vmcnt(2)
	v_dot4c_i32_i8 v154, v107, v110
	v_cvt_f32_i32_e32 v24, v153
	v_fma_f32 v25, v14, v25, -v15
	v_cvt_f32_i32_e32 v107, v154
	v_fma_f32 v24, v16, v24, -v17
	v_fma_mix_f32 v20, v25, v20, v22 op_sel_hi:[0,1,0]
	v_fma_mix_f32 v20, v24, v21, v20 op_sel_hi:[0,1,0]
	s_waitcnt vmcnt(1)
	v_dot4c_i32_i8 v155, v23, v108
	s_waitcnt vmcnt(0)
	v_dot4c_i32_i8 v156, v19, v109
	v_fma_f32 v19, v16, v107, -v17
	v_cvt_f32_i32_e32 v22, v155
	v_cvt_f32_i32_e32 v23, v156
	v_fma_mix_f32 v19, v19, v21, v20 op_sel_hi:[0,1,0]
	v_fma_f32 v20, v16, v22, -v17
	v_fma_f32 v22, v16, v23, -v17
	v_fma_mix_f32 v19, v20, v21, v19 op_sel_hi:[0,1,0]
	buffer_load_dword v20, off, s[96:99], 0 offset:152 ; 4-byte Folded Reload
	buffer_store_dword v58, off, s[96:99], 0 ; 4-byte Folded Spill
	buffer_store_dword v59, off, s[96:99], 0 offset:4 ; 4-byte Folded Spill
	v_fma_mix_f32 v19, v22, v21, v19 op_sel_hi:[0,1,0]
	s_waitcnt vmcnt(0)
	ds_bpermute_b32 v20, v20, v19
	s_waitcnt lgkmcnt(0)
	v_add_f32_e32 v19, v19, v20
	s_cbranch_vccnz .LBB23_20
; %bb.19:                               ;   in Loop: Header=BB23_15 Depth=1
	global_load_ushort v20, v[58:59], off
	buffer_load_dword v21, off, s[96:99], 0 offset:548 ; 4-byte Folded Reload
	s_waitcnt vmcnt(0)
	v_fma_mix_f32 v19, v21, v20, v19 op_sel_hi:[0,1,0]
.LBB23_20:                              ;   in Loop: Header=BB23_15 Depth=1
	v_add_f32_e32 v20, 0x40051340, v18
	v_add_f32_e32 v21, 0x40051340, v19
	s_clause 0x15
	buffer_load_dword v138, off, s[96:99], 0 offset:296
	buffer_load_dword v158, off, s[96:99], 0 offset:300
	;; [unrolled: 1-line block ×22, first 2 shown]
	v_cndmask_b32_e64 v18, v19, v18, s1
	v_mov_b32_e32 v147, v192
	buffer_load_dword v19, off, s[96:99], 0 offset:568 ; 4-byte Folded Reload
	v_max3_f32 v20, v208, v20, v21
	buffer_load_dword v21, off, s[96:99], 0 offset:556 ; 4-byte Folded Reload
	s_add_i32 s70, s70, s86
	buffer_load_dword v121, off, s[96:99], 0 offset:572 ; 4-byte Folded Reload
	s_cmp_ge_i32 s70, s84
	s_waitcnt vmcnt(24)
	v_mov_b32_e32 v107, v138
	s_waitcnt vmcnt(1)
	ds_bpermute_b32 v21, v21, v20
	s_waitcnt lgkmcnt(0)
	v_max_f32_e32 v21, v21, v21
	v_max_f32_e32 v20, v20, v21
	buffer_load_dword v21, off, s[96:99], 0 offset:560 ; 4-byte Folded Reload
	s_waitcnt vmcnt(0)
	ds_bpermute_b32 v21, v21, v20
	s_waitcnt lgkmcnt(0)
	v_max_f32_e32 v21, v21, v21
	v_max_f32_e32 v20, v20, v21
	buffer_load_dword v21, off, s[96:99], 0 offset:564 ; 4-byte Folded Reload
	s_waitcnt vmcnt(0)
	ds_bpermute_b32 v21, v21, v20
	s_waitcnt lgkmcnt(0)
	v_max_f32_e32 v21, v21, v21
	v_max_f32_e32 v20, v20, v21
	ds_bpermute_b32 v19, v19, v20
	s_waitcnt lgkmcnt(0)
	v_max_f32_e32 v19, v19, v19
	v_max_f32_e32 v58, v20, v19
	v_sub_f32_e32 v18, v18, v58
	v_mul_f32_e32 v19, 0x3fb8aa3b, v18
	v_cmp_ngt_f32_e32 vcc_lo, 0xc2ce8ed0, v18
	v_fma_f32 v20, 0x3fb8aa3b, v18, -v19
	v_rndne_f32_e32 v21, v19
	v_fmac_f32_e32 v20, 0x32a5705f, v18
	v_sub_f32_e32 v19, v19, v21
	v_add_f32_e32 v19, v19, v20
	v_cvt_i32_f32_e32 v20, v21
	v_exp_f32_e32 v19, v19
	v_ldexp_f32 v19, v19, v20
	v_cndmask_b32_e32 v19, 0, v19, vcc_lo
	v_cmp_nlt_f32_e32 vcc_lo, 0x42b17218, v18
	v_cndmask_b32_e32 v108, 0x7f800000, v19, vcc_lo
	buffer_load_dword v19, off, s[96:99], 0 offset:552 ; 4-byte Folded Reload
	v_add_co_u32 v135, vcc_lo, v159, s8
	v_add_co_ci_u32_e64 v136, null, 0, v160, vcc_lo
	v_cvt_f16_f32_e32 v18, v108
	s_waitcnt vmcnt(0)
	ds_write_b16 v19, v18
	ds_read_b128 v[22:25], v121
	ds_read_b128 v[18:21], v121 offset:16
	s_waitcnt lgkmcnt(1)
	v_mul_u32_u24_sdwa v131, v22, v106 dst_sel:DWORD dst_unused:UNUSED_PAD src0_sel:WORD_0 src1_sel:DWORD
	v_mul_u32_u24_sdwa v128, v22, v106 dst_sel:DWORD dst_unused:UNUSED_PAD src0_sel:WORD_1 src1_sel:DWORD
	v_mul_u32_u24_sdwa v126, v23, v106 dst_sel:DWORD dst_unused:UNUSED_PAD src0_sel:WORD_0 src1_sel:DWORD
	v_mul_u32_u24_sdwa v124, v23, v106 dst_sel:DWORD dst_unused:UNUSED_PAD src0_sel:WORD_1 src1_sel:DWORD
	;; [unrolled: 2-line block ×4, first 2 shown]
	s_waitcnt lgkmcnt(0)
	v_mul_u32_u24_sdwa v110, v18, v106 dst_sel:DWORD dst_unused:UNUSED_PAD src0_sel:WORD_0 src1_sel:DWORD
	v_mul_u32_u24_sdwa v111, v18, v106 dst_sel:DWORD dst_unused:UNUSED_PAD src0_sel:WORD_1 src1_sel:DWORD
	v_mul_u32_u24_sdwa v112, v19, v106 dst_sel:DWORD dst_unused:UNUSED_PAD src0_sel:WORD_0 src1_sel:DWORD
	v_mul_u32_u24_sdwa v113, v19, v106 dst_sel:DWORD dst_unused:UNUSED_PAD src0_sel:WORD_1 src1_sel:DWORD
	;; [unrolled: 2-line block ×4, first 2 shown]
	ds_read_b128 v[18:21], v121 offset:32
	ds_read_b128 v[22:25], v121 offset:48
	s_clause 0x1
	buffer_load_dword v10, off, s[96:99], 0 offset:544
	buffer_load_dword v59, off, s[96:99], 0 offset:524
	buffer_store_dword v204, off, s[96:99], 0 offset:376 ; 4-byte Folded Spill
	buffer_store_dword v205, off, s[96:99], 0 offset:380 ; 4-byte Folded Spill
	;; [unrolled: 1-line block ×14, first 2 shown]
	s_waitcnt lgkmcnt(1)
	v_mul_u32_u24_sdwa v134, v18, v106 dst_sel:DWORD dst_unused:UNUSED_PAD src0_sel:WORD_0 src1_sel:DWORD
	s_waitcnt lgkmcnt(0)
	v_mul_u32_u24_sdwa v123, v25, v106 dst_sel:DWORD dst_unused:UNUSED_PAD src0_sel:WORD_0 src1_sel:DWORD
	v_mul_u32_u24_sdwa v166, v25, v106 dst_sel:DWORD dst_unused:UNUSED_PAD src0_sel:WORD_1 src1_sel:DWORD
	global_load_dword v25, v[135:136], off
	v_add_co_u32 v135, vcc_lo, v163, s8
	v_add_co_ci_u32_e64 v136, null, 0, v164, vcc_lo
	v_mul_u32_u24_sdwa v133, v18, v106 dst_sel:DWORD dst_unused:UNUSED_PAD src0_sel:WORD_1 src1_sel:DWORD
	v_mul_u32_u24_sdwa v132, v19, v106 dst_sel:DWORD dst_unused:UNUSED_PAD src0_sel:WORD_0 src1_sel:DWORD
	v_mul_u32_u24_sdwa v130, v19, v106 dst_sel:DWORD dst_unused:UNUSED_PAD src0_sel:WORD_1 src1_sel:DWORD
	global_load_dword v137, v[135:136], off
	v_add_co_u32 v135, vcc_lo, v138, s8
	v_add_co_ci_u32_e64 v136, null, 0, v158, vcc_lo
	v_mul_u32_u24_sdwa v127, v20, v106 dst_sel:DWORD dst_unused:UNUSED_PAD src0_sel:WORD_0 src1_sel:DWORD
	v_mul_u32_u24_sdwa v125, v20, v106 dst_sel:DWORD dst_unused:UNUSED_PAD src0_sel:WORD_1 src1_sel:DWORD
	v_mul_u32_u24_sdwa v122, v21, v106 dst_sel:DWORD dst_unused:UNUSED_PAD src0_sel:WORD_0 src1_sel:DWORD
	global_load_ushort v138, v[135:136], off
	v_add_co_u32 v135, vcc_lo, v161, s8
	v_add_co_ci_u32_e64 v136, null, 0, v162, vcc_lo
	v_mul_u32_u24_sdwa v18, v21, v106 dst_sel:DWORD dst_unused:UNUSED_PAD src0_sel:WORD_1 src1_sel:DWORD
	v_mul_u32_u24_sdwa v19, v22, v106 dst_sel:DWORD dst_unused:UNUSED_PAD src0_sel:WORD_0 src1_sel:DWORD
	v_mov_b32_e32 v21, v144
	global_load_ushort v135, v[135:136], off
	v_sub_f32_e32 v136, v208, v58
	v_mov_b32_e32 v208, v210
	v_mov_b32_e32 v58, v99
	v_mov_b32_e32 v99, v98
	v_mov_b32_e32 v98, v97
	v_mul_f32_e32 v139, 0x3fb8aa3b, v136
	v_cmp_ngt_f32_e32 vcc_lo, 0xc2ce8ed0, v136
	v_mul_u32_u24_sdwa v20, v22, v106 dst_sel:DWORD dst_unused:UNUSED_PAD src0_sel:WORD_1 src1_sel:DWORD
	v_mul_u32_u24_sdwa v22, v23, v106 dst_sel:DWORD dst_unused:UNUSED_PAD src0_sel:WORD_0 src1_sel:DWORD
	v_mul_u32_u24_sdwa v23, v23, v106 dst_sel:DWORD dst_unused:UNUSED_PAD src0_sel:WORD_1 src1_sel:DWORD
	v_fma_f32 v140, 0x3fb8aa3b, v136, -v139
	v_rndne_f32_e32 v141, v139
	v_mul_u32_u24_sdwa v121, v24, v106 dst_sel:DWORD dst_unused:UNUSED_PAD src0_sel:WORD_0 src1_sel:DWORD
	v_mul_u32_u24_sdwa v24, v24, v106 dst_sel:DWORD dst_unused:UNUSED_PAD src0_sel:WORD_1 src1_sel:DWORD
	v_mov_b32_e32 v97, v52
	v_fmac_f32_e32 v140, 0x32a5705f, v136
	v_sub_f32_e32 v139, v139, v141
	v_add_f32_e32 v139, v139, v140
	v_cvt_i32_f32_e32 v140, v141
	v_exp_f32_e32 v139, v139
	v_ldexp_f32 v139, v139, v140
	v_cndmask_b32_e32 v139, 0, v139, vcc_lo
	v_cmp_nlt_f32_e32 vcc_lo, 0x42b17218, v136
	v_cndmask_b32_e32 v136, 0x7f800000, v139, vcc_lo
	buffer_load_dword v139, off, s[96:99], 0 offset:148 ; 4-byte Folded Reload
	s_waitcnt vmcnt(4)
	v_ashrrev_i32_e32 v25, v105, v25
	v_and_b32_e32 v25, 0xf0f0f0f, v25
	s_waitcnt vmcnt(3)
	v_ashrrev_i32_e32 v137, v105, v137
	v_lshlrev_b16 v141, 8, v25
	v_and_b32_e32 v142, 0xf00, v25
	v_lshrrev_b32_e32 v25, 16, v25
	v_and_b32_e32 v137, 0xf0f0f0f, v137
	v_add_nc_u16 v141, 0xf800, v141
	s_waitcnt vmcnt(2)
	v_mul_u32_u24_e32 v138, 0x10001, v138
	v_and_b32_e32 v143, 0xf00, v137
	v_or_b32_sdwa v141, v142, v141 dst_sel:DWORD dst_unused:UNUSED_PAD src0_sel:DWORD src1_sel:BYTE_1
	v_lshlrev_b16 v142, 8, v137
	v_lshrrev_b32_e32 v137, 16, v137
	s_waitcnt vmcnt(1)
	v_mul_u32_u24_e32 v135, 0x10001, v135
	v_add_nc_u16 v141, 0xf800, v141
	v_add_nc_u16 v142, 0xf800, v142
	v_or_b32_sdwa v142, v143, v142 dst_sel:DWORD dst_unused:UNUSED_PAD src0_sel:DWORD src1_sel:BYTE_1
	v_lshlrev_b16 v143, 8, v25
	v_and_b32_e32 v25, 0xf00, v25
	v_add_nc_u16 v142, 0xf800, v142
	v_add_nc_u16 v143, 0xf800, v143
	v_or_b32_sdwa v25, v25, v143 dst_sel:DWORD dst_unused:UNUSED_PAD src0_sel:DWORD src1_sel:BYTE_1
	v_lshlrev_b16 v143, 8, v137
	v_and_b32_e32 v137, 0xf00, v137
	v_add_nc_u16 v25, 0xf800, v25
	v_add_nc_u16 v143, 0xf800, v143
	v_or_b32_sdwa v137, v137, v143 dst_sel:DWORD dst_unused:UNUSED_PAD src0_sel:DWORD src1_sel:BYTE_1
	v_lshrrev_b32_e32 v143, 8, v141
	v_cvt_f16_i16_sdwa v141, sext(v141) dst_sel:DWORD dst_unused:UNUSED_PAD src0_sel:BYTE_0
	v_add_nc_u16 v137, 0xf800, v137
	v_cvt_f16_i16_sdwa v143, sext(v143) dst_sel:DWORD dst_unused:UNUSED_PAD src0_sel:BYTE_0
	v_pack_b32_f16 v141, v141, v143
	v_lshrrev_b32_e32 v143, 8, v142
	v_cvt_f16_i16_sdwa v142, sext(v142) dst_sel:DWORD dst_unused:UNUSED_PAD src0_sel:BYTE_0
	v_pk_mul_f16 v141, v141, v138
	v_cvt_f16_i16_sdwa v143, sext(v143) dst_sel:DWORD dst_unused:UNUSED_PAD src0_sel:BYTE_0
	v_pack_b32_f16 v142, v142, v143
	v_lshrrev_b32_e32 v143, 8, v25
	v_cvt_f16_i16_sdwa v25, sext(v25) dst_sel:DWORD dst_unused:UNUSED_PAD src0_sel:BYTE_0
	v_cvt_f16_i16_sdwa v143, sext(v143) dst_sel:DWORD dst_unused:UNUSED_PAD src0_sel:BYTE_0
	v_pack_b32_f16 v25, v25, v143
	v_lshrrev_b32_e32 v143, 8, v137
	v_cvt_f16_i16_sdwa v137, sext(v137) dst_sel:DWORD dst_unused:UNUSED_PAD src0_sel:BYTE_0
	v_pk_mul_f16 v25, v25, v138
	v_cvt_f16_i16_sdwa v143, sext(v143) dst_sel:DWORD dst_unused:UNUSED_PAD src0_sel:BYTE_0
	v_pk_mul_f16 v138, v142, v135
	v_pack_b32_f16 v137, v137, v143
	buffer_load_dword v143, off, s[96:99], 0 offset:328 ; 4-byte Folded Reload
	s_waitcnt vmcnt(1)
	v_fma_f32 v139, v139, v136, v108
	v_cvt_f16_f32_e32 v108, v136
	v_pk_mul_f16 v135, v137, v135
	buffer_store_dword v139, off, s[96:99], 0 offset:148 ; 4-byte Folded Spill
	v_mul_u32_u24_sdwa v108, v108, v106 dst_sel:DWORD dst_unused:UNUSED_PAD src0_sel:WORD_0 src1_sel:DWORD
	v_pk_mul_f16 v136, v10, v108
	buffer_load_dword v10, off, s[96:99], 0 offset:540 ; 4-byte Folded Reload
	v_pk_fma_f16 v137, v141, v131, v136
	s_waitcnt vmcnt(0)
	v_pk_mul_f16 v139, v10, v108
	buffer_load_dword v10, off, s[96:99], 0 offset:536 ; 4-byte Folded Reload
	v_pk_fma_f16 v25, v25, v131, v139
	s_waitcnt vmcnt(0)
	;; [unrolled: 4-line block ×3, first 2 shown]
	v_pk_mul_f16 v108, v10, v108
	v_mov_b32_e32 v10, v9
	v_pk_fma_f16 v108, v135, v131, v108
	v_add_co_u32 v135, vcc_lo, v165, s8
	v_add_co_ci_u32_e64 v136, null, 0, v146, vcc_lo
	global_load_dword v131, v[135:136], off
	v_add_co_u32 v135, vcc_lo, v5, s8
	v_add_co_ci_u32_e64 v136, null, 0, v2, vcc_lo
	global_load_dword v139, v[135:136], off
	v_add_co_u32 v135, vcc_lo, v143, s8
	v_add_co_ci_u32_e64 v136, null, 0, v144, vcc_lo
	global_load_ushort v140, v[135:136], off
	v_add_co_u32 v135, vcc_lo, v3, s8
	v_add_co_ci_u32_e64 v136, null, 0, v4, vcc_lo
	global_load_ushort v135, v[135:136], off
	s_waitcnt vmcnt(3)
	v_ashrrev_i32_e32 v131, v105, v131
	v_and_b32_e32 v131, 0xf0f0f0f, v131
	s_waitcnt vmcnt(2)
	v_ashrrev_i32_e32 v139, v105, v139
	v_lshlrev_b16 v136, 8, v131
	v_and_b32_e32 v141, 0xf00, v131
	v_lshrrev_b32_e32 v131, 16, v131
	v_and_b32_e32 v139, 0xf0f0f0f, v139
	v_add_nc_u16 v136, 0xf800, v136
	s_waitcnt vmcnt(1)
	v_mul_u32_u24_e32 v140, 0x10001, v140
	v_and_b32_e32 v142, 0xf00, v139
	v_or_b32_sdwa v136, v141, v136 dst_sel:DWORD dst_unused:UNUSED_PAD src0_sel:DWORD src1_sel:BYTE_1
	v_lshlrev_b16 v141, 8, v139
	v_lshrrev_b32_e32 v139, 16, v139
	s_waitcnt vmcnt(0)
	v_mul_u32_u24_e32 v135, 0x10001, v135
	v_add_nc_u16 v136, 0xf800, v136
	v_add_nc_u16 v141, 0xf800, v141
	v_or_b32_sdwa v141, v142, v141 dst_sel:DWORD dst_unused:UNUSED_PAD src0_sel:DWORD src1_sel:BYTE_1
	v_lshlrev_b16 v142, 8, v131
	v_and_b32_e32 v131, 0xf00, v131
	v_add_nc_u16 v141, 0xf800, v141
	v_add_nc_u16 v142, 0xf800, v142
	v_or_b32_sdwa v131, v131, v142 dst_sel:DWORD dst_unused:UNUSED_PAD src0_sel:DWORD src1_sel:BYTE_1
	v_lshlrev_b16 v142, 8, v139
	v_and_b32_e32 v139, 0xf00, v139
	v_add_nc_u16 v131, 0xf800, v131
	v_add_nc_u16 v142, 0xf800, v142
	v_or_b32_sdwa v139, v139, v142 dst_sel:DWORD dst_unused:UNUSED_PAD src0_sel:DWORD src1_sel:BYTE_1
	v_lshrrev_b32_e32 v142, 8, v136
	v_cvt_f16_i16_sdwa v136, sext(v136) dst_sel:DWORD dst_unused:UNUSED_PAD src0_sel:BYTE_0
	v_add_nc_u16 v139, 0xf800, v139
	v_cvt_f16_i16_sdwa v142, sext(v142) dst_sel:DWORD dst_unused:UNUSED_PAD src0_sel:BYTE_0
	v_pack_b32_f16 v136, v136, v142
	v_lshrrev_b32_e32 v142, 8, v141
	v_cvt_f16_i16_sdwa v141, sext(v141) dst_sel:DWORD dst_unused:UNUSED_PAD src0_sel:BYTE_0
	v_pk_mul_f16 v136, v136, v140
	v_cvt_f16_i16_sdwa v142, sext(v142) dst_sel:DWORD dst_unused:UNUSED_PAD src0_sel:BYTE_0
	v_pk_fma_f16 v137, v136, v128, v137
	v_pack_b32_f16 v141, v141, v142
	v_lshrrev_b32_e32 v142, 8, v131
	v_cvt_f16_i16_sdwa v131, sext(v131) dst_sel:DWORD dst_unused:UNUSED_PAD src0_sel:BYTE_0
	v_cvt_f16_i16_sdwa v142, sext(v142) dst_sel:DWORD dst_unused:UNUSED_PAD src0_sel:BYTE_0
	v_pack_b32_f16 v131, v131, v142
	v_lshrrev_b32_e32 v142, 8, v139
	v_cvt_f16_i16_sdwa v139, sext(v139) dst_sel:DWORD dst_unused:UNUSED_PAD src0_sel:BYTE_0
	v_pk_mul_f16 v131, v131, v140
	v_cvt_f16_i16_sdwa v142, sext(v142) dst_sel:DWORD dst_unused:UNUSED_PAD src0_sel:BYTE_0
	v_pk_mul_f16 v140, v141, v135
	v_pk_fma_f16 v25, v131, v128, v25
	v_pack_b32_f16 v139, v139, v142
	buffer_load_dword v142, off, s[96:99], 0 offset:368 ; 4-byte Folded Reload
	v_pk_fma_f16 v138, v140, v128, v138
	v_pk_mul_f16 v135, v139, v135
	v_pk_fma_f16 v108, v135, v128, v108
	v_add_co_u32 v135, vcc_lo, v8, s8
	v_add_co_ci_u32_e64 v136, null, 0, v9, vcc_lo
	v_mov_b32_e32 v9, v8
	v_mov_b32_e32 v8, v7
	global_load_dword v128, v[135:136], off
	v_add_co_u32 v135, vcc_lo, v12, s8
	v_add_co_ci_u32_e64 v136, null, 0, v13, vcc_lo
	global_load_dword v131, v[135:136], off
	s_waitcnt vmcnt(2)
	v_add_co_u32 v135, vcc_lo, v142, s8
	v_add_co_ci_u32_e64 v136, null, 0, v7, vcc_lo
	v_mov_b32_e32 v7, v6
	global_load_ushort v139, v[135:136], off
	v_add_co_u32 v135, vcc_lo, v6, s8
	v_add_co_ci_u32_e64 v136, null, 0, v11, vcc_lo
	v_mov_b32_e32 v6, v2
	v_mov_b32_e32 v2, v146
	global_load_ushort v135, v[135:136], off
	s_waitcnt vmcnt(3)
	v_ashrrev_i32_e32 v128, v105, v128
	v_and_b32_e32 v128, 0xf0f0f0f, v128
	s_waitcnt vmcnt(2)
	v_ashrrev_i32_e32 v131, v105, v131
	v_lshlrev_b16 v136, 8, v128
	v_and_b32_e32 v140, 0xf00, v128
	v_lshrrev_b32_e32 v128, 16, v128
	v_and_b32_e32 v131, 0xf0f0f0f, v131
	v_add_nc_u16 v136, 0xf800, v136
	v_and_b32_e32 v141, 0xf00, v131
	v_or_b32_sdwa v136, v140, v136 dst_sel:DWORD dst_unused:UNUSED_PAD src0_sel:DWORD src1_sel:BYTE_1
	v_lshlrev_b16 v140, 8, v131
	v_lshrrev_b32_e32 v131, 16, v131
	v_add_nc_u16 v136, 0xf800, v136
	v_add_nc_u16 v140, 0xf800, v140
	v_or_b32_sdwa v140, v141, v140 dst_sel:DWORD dst_unused:UNUSED_PAD src0_sel:DWORD src1_sel:BYTE_1
	v_lshlrev_b16 v141, 8, v128
	v_and_b32_e32 v128, 0xf00, v128
	v_add_nc_u16 v140, 0xf800, v140
	v_add_nc_u16 v141, 0xf800, v141
	v_or_b32_sdwa v128, v128, v141 dst_sel:DWORD dst_unused:UNUSED_PAD src0_sel:DWORD src1_sel:BYTE_1
	v_lshlrev_b16 v141, 8, v131
	v_and_b32_e32 v131, 0xf00, v131
	v_add_nc_u16 v128, 0xf800, v128
	v_add_nc_u16 v141, 0xf800, v141
	v_or_b32_sdwa v131, v131, v141 dst_sel:DWORD dst_unused:UNUSED_PAD src0_sel:DWORD src1_sel:BYTE_1
	v_lshrrev_b32_e32 v141, 8, v136
	v_cvt_f16_i16_sdwa v136, sext(v136) dst_sel:DWORD dst_unused:UNUSED_PAD src0_sel:BYTE_0
	v_add_nc_u16 v131, 0xf800, v131
	v_cvt_f16_i16_sdwa v141, sext(v141) dst_sel:DWORD dst_unused:UNUSED_PAD src0_sel:BYTE_0
	v_pack_b32_f16 v136, v136, v141
	v_lshrrev_b32_e32 v141, 8, v140
	v_cvt_f16_i16_sdwa v140, sext(v140) dst_sel:DWORD dst_unused:UNUSED_PAD src0_sel:BYTE_0
	v_cvt_f16_i16_sdwa v141, sext(v141) dst_sel:DWORD dst_unused:UNUSED_PAD src0_sel:BYTE_0
	v_pack_b32_f16 v140, v140, v141
	v_lshrrev_b32_e32 v141, 8, v128
	v_cvt_f16_i16_sdwa v128, sext(v128) dst_sel:DWORD dst_unused:UNUSED_PAD src0_sel:BYTE_0
	;; [unrolled: 4-line block ×3, first 2 shown]
	v_cvt_f16_i16_sdwa v141, sext(v141) dst_sel:DWORD dst_unused:UNUSED_PAD src0_sel:BYTE_0
	v_pack_b32_f16 v131, v131, v141
	s_waitcnt vmcnt(1)
	v_mul_u32_u24_e32 v139, 0x10001, v139
	v_pk_mul_f16 v136, v136, v139
	v_pk_mul_f16 v128, v128, v139
	s_waitcnt vmcnt(0)
	v_mul_u32_u24_e32 v135, 0x10001, v135
	v_pk_fma_f16 v137, v136, v126, v137
	v_pk_fma_f16 v25, v128, v126, v25
	v_pk_mul_f16 v139, v140, v135
	v_pk_mul_f16 v131, v131, v135
	v_add_co_u32 v135, vcc_lo, v201, s8
	v_add_co_ci_u32_e64 v136, null, 0, v204, vcc_lo
	v_pk_fma_f16 v138, v139, v126, v138
	v_pk_fma_f16 v108, v131, v126, v108
	v_mov_b32_e32 v204, v203
	global_load_dword v126, v[135:136], off
	v_add_co_u32 v135, vcc_lo, v200, s8
	v_mov_b32_e32 v201, v207
	v_add_co_ci_u32_e64 v136, null, 0, v204, vcc_lo
	v_mov_b32_e32 v200, v202
	global_load_dword v128, v[135:136], off
	v_add_co_u32 v135, vcc_lo, v205, s8
	v_add_co_ci_u32_e64 v136, null, 0, v208, vcc_lo
	v_mov_b32_e32 v205, v206
	global_load_ushort v131, v[135:136], off
	v_add_co_u32 v135, vcc_lo, v205, s8
	v_add_co_ci_u32_e64 v136, null, 0, v201, vcc_lo
	global_load_ushort v135, v[135:136], off
	s_waitcnt vmcnt(3)
	v_ashrrev_i32_e32 v126, v105, v126
	v_and_b32_e32 v126, 0xf0f0f0f, v126
	s_waitcnt vmcnt(2)
	v_ashrrev_i32_e32 v128, v105, v128
	v_lshlrev_b16 v136, 8, v126
	v_and_b32_e32 v139, 0xf00, v126
	v_lshrrev_b32_e32 v126, 16, v126
	v_and_b32_e32 v128, 0xf0f0f0f, v128
	v_add_nc_u16 v136, 0xf800, v136
	s_waitcnt vmcnt(1)
	v_mul_u32_u24_e32 v131, 0x10001, v131
	v_and_b32_e32 v140, 0xf00, v128
	v_or_b32_sdwa v136, v139, v136 dst_sel:DWORD dst_unused:UNUSED_PAD src0_sel:DWORD src1_sel:BYTE_1
	v_lshlrev_b16 v139, 8, v128
	v_lshrrev_b32_e32 v128, 16, v128
	v_add_nc_u16 v136, 0xf800, v136
	v_add_nc_u16 v139, 0xf800, v139
	v_or_b32_sdwa v139, v140, v139 dst_sel:DWORD dst_unused:UNUSED_PAD src0_sel:DWORD src1_sel:BYTE_1
	v_lshlrev_b16 v140, 8, v126
	v_and_b32_e32 v126, 0xf00, v126
	v_add_nc_u16 v139, 0xf800, v139
	v_add_nc_u16 v140, 0xf800, v140
	v_or_b32_sdwa v126, v126, v140 dst_sel:DWORD dst_unused:UNUSED_PAD src0_sel:DWORD src1_sel:BYTE_1
	v_lshlrev_b16 v140, 8, v128
	v_and_b32_e32 v128, 0xf00, v128
	v_add_nc_u16 v126, 0xf800, v126
	v_add_nc_u16 v140, 0xf800, v140
	v_or_b32_sdwa v128, v128, v140 dst_sel:DWORD dst_unused:UNUSED_PAD src0_sel:DWORD src1_sel:BYTE_1
	v_lshrrev_b32_e32 v140, 8, v136
	v_cvt_f16_i16_sdwa v136, sext(v136) dst_sel:DWORD dst_unused:UNUSED_PAD src0_sel:BYTE_0
	v_add_nc_u16 v128, 0xf800, v128
	v_cvt_f16_i16_sdwa v140, sext(v140) dst_sel:DWORD dst_unused:UNUSED_PAD src0_sel:BYTE_0
	v_pack_b32_f16 v136, v136, v140
	v_lshrrev_b32_e32 v140, 8, v139
	v_cvt_f16_i16_sdwa v139, sext(v139) dst_sel:DWORD dst_unused:UNUSED_PAD src0_sel:BYTE_0
	v_pk_mul_f16 v136, v136, v131
	v_cvt_f16_i16_sdwa v140, sext(v140) dst_sel:DWORD dst_unused:UNUSED_PAD src0_sel:BYTE_0
	v_pack_b32_f16 v139, v139, v140
	v_lshrrev_b32_e32 v140, 8, v126
	v_cvt_f16_i16_sdwa v126, sext(v126) dst_sel:DWORD dst_unused:UNUSED_PAD src0_sel:BYTE_0
	v_cvt_f16_i16_sdwa v140, sext(v140) dst_sel:DWORD dst_unused:UNUSED_PAD src0_sel:BYTE_0
	v_pack_b32_f16 v126, v126, v140
	v_lshrrev_b32_e32 v140, 8, v128
	v_cvt_f16_i16_sdwa v128, sext(v128) dst_sel:DWORD dst_unused:UNUSED_PAD src0_sel:BYTE_0
	v_pk_mul_f16 v126, v126, v131
	v_cvt_f16_i16_sdwa v140, sext(v140) dst_sel:DWORD dst_unused:UNUSED_PAD src0_sel:BYTE_0
	s_waitcnt vmcnt(0)
	v_mul_u32_u24_e32 v131, 0x10001, v135
	v_pk_fma_f16 v25, v126, v124, v25
	v_pack_b32_f16 v128, v128, v140
	v_pk_mul_f16 v135, v139, v131
	v_pk_mul_f16 v128, v128, v131
	v_pk_fma_f16 v131, v136, v124, v137
	v_pk_fma_f16 v137, v135, v124, v138
	v_add_co_u32 v135, vcc_lo, v195, s8
	v_add_co_ci_u32_e64 v136, null, 0, v197, vcc_lo
	v_pk_fma_f16 v108, v128, v124, v108
	v_mov_b32_e32 v195, v194
	v_mov_b32_e32 v197, v199
	global_load_dword v124, v[135:136], off
	v_add_co_u32 v135, vcc_lo, v198, s8
	v_add_co_ci_u32_e64 v136, null, 0, v200, vcc_lo
	v_mov_b32_e32 v198, v196
	global_load_ushort v126, v[135:136], off
	v_add_co_u32 v135, vcc_lo, v190, s8
	v_add_co_ci_u32_e64 v136, null, 0, v195, vcc_lo
	v_mov_b32_e32 v190, v187
	global_load_dword v128, v[135:136], off
	v_add_co_u32 v135, vcc_lo, v198, s8
	v_add_co_ci_u32_e64 v136, null, 0, v197, vcc_lo
	global_load_ushort v135, v[135:136], off
	s_waitcnt vmcnt(3)
	v_ashrrev_i32_e32 v124, v105, v124
	v_and_b32_e32 v124, 0xf0f0f0f, v124
	s_waitcnt vmcnt(2)
	v_mul_u32_u24_e32 v126, 0x10001, v126
	v_lshlrev_b16 v136, 8, v124
	v_and_b32_e32 v138, 0xf00, v124
	v_lshrrev_b32_e32 v124, 16, v124
	v_add_nc_u16 v136, 0xf800, v136
	v_or_b32_sdwa v136, v138, v136 dst_sel:DWORD dst_unused:UNUSED_PAD src0_sel:DWORD src1_sel:BYTE_1
	v_lshlrev_b16 v138, 8, v124
	v_and_b32_e32 v124, 0xf00, v124
	s_waitcnt vmcnt(0)
	v_mul_u32_u24_e32 v135, 0x10001, v135
	v_add_nc_u16 v136, 0xf800, v136
	v_add_nc_u16 v138, 0xf800, v138
	v_or_b32_sdwa v124, v124, v138 dst_sel:DWORD dst_unused:UNUSED_PAD src0_sel:DWORD src1_sel:BYTE_1
	v_lshrrev_b32_e32 v138, 8, v136
	v_cvt_f16_i16_sdwa v136, sext(v136) dst_sel:DWORD dst_unused:UNUSED_PAD src0_sel:BYTE_0
	v_add_nc_u16 v124, 0xf800, v124
	v_cvt_f16_i16_sdwa v138, sext(v138) dst_sel:DWORD dst_unused:UNUSED_PAD src0_sel:BYTE_0
	v_pack_b32_f16 v136, v136, v138
	v_lshrrev_b32_e32 v138, 8, v124
	v_cvt_f16_i16_sdwa v124, sext(v124) dst_sel:DWORD dst_unused:UNUSED_PAD src0_sel:BYTE_0
	v_pk_mul_f16 v136, v136, v126
	v_cvt_f16_i16_sdwa v138, sext(v138) dst_sel:DWORD dst_unused:UNUSED_PAD src0_sel:BYTE_0
	v_pk_fma_f16 v131, v136, v120, v131
	v_pack_b32_f16 v124, v124, v138
	v_pk_mul_f16 v124, v124, v126
	v_ashrrev_i32_e32 v126, v105, v128
	v_pk_fma_f16 v25, v124, v120, v25
	v_and_b32_e32 v126, 0xf0f0f0f, v126
	v_lshlrev_b16 v128, 8, v126
	v_and_b32_e32 v138, 0xf00, v126
	v_lshrrev_b32_e32 v126, 16, v126
	v_add_nc_u16 v128, 0xf800, v128
	v_or_b32_sdwa v128, v138, v128 dst_sel:DWORD dst_unused:UNUSED_PAD src0_sel:DWORD src1_sel:BYTE_1
	v_lshlrev_b16 v138, 8, v126
	v_and_b32_e32 v126, 0xf00, v126
	v_add_nc_u16 v128, 0xf800, v128
	v_add_nc_u16 v138, 0xf800, v138
	v_or_b32_sdwa v126, v126, v138 dst_sel:DWORD dst_unused:UNUSED_PAD src0_sel:DWORD src1_sel:BYTE_1
	v_lshrrev_b32_e32 v138, 8, v128
	v_cvt_f16_i16_sdwa v128, sext(v128) dst_sel:DWORD dst_unused:UNUSED_PAD src0_sel:BYTE_0
	v_add_nc_u16 v126, 0xf800, v126
	v_cvt_f16_i16_sdwa v138, sext(v138) dst_sel:DWORD dst_unused:UNUSED_PAD src0_sel:BYTE_0
	v_pack_b32_f16 v128, v128, v138
	v_lshrrev_b32_e32 v138, 8, v126
	v_cvt_f16_i16_sdwa v126, sext(v126) dst_sel:DWORD dst_unused:UNUSED_PAD src0_sel:BYTE_0
	v_pk_mul_f16 v128, v128, v135
	v_cvt_f16_i16_sdwa v138, sext(v138) dst_sel:DWORD dst_unused:UNUSED_PAD src0_sel:BYTE_0
	v_pk_fma_f16 v124, v128, v120, v137
	v_pack_b32_f16 v126, v126, v138
	v_pk_mul_f16 v126, v126, v135
	v_add_co_u32 v135, vcc_lo, v185, s8
	v_add_co_ci_u32_e64 v136, null, 0, v191, vcc_lo
	v_pk_fma_f16 v108, v126, v120, v108
	v_mov_b32_e32 v185, v183
	v_mov_b32_e32 v191, v188
	global_load_dword v120, v[135:136], off
	v_add_co_u32 v135, vcc_lo, v192, s8
	v_add_co_ci_u32_e64 v136, null, 0, v190, vcc_lo
	global_load_ushort v126, v[135:136], off
	v_add_co_u32 v135, vcc_lo, v184, s8
	v_add_co_ci_u32_e64 v136, null, 0, v186, vcc_lo
	v_mov_b32_e32 v184, v169
	v_mov_b32_e32 v186, v182
	global_load_dword v128, v[135:136], off
	v_add_co_u32 v135, vcc_lo, v185, s8
	v_add_co_ci_u32_e64 v136, null, 0, v191, vcc_lo
	global_load_ushort v135, v[135:136], off
	s_waitcnt vmcnt(3)
	v_ashrrev_i32_e32 v120, v105, v120
	v_and_b32_e32 v120, 0xf0f0f0f, v120
	s_waitcnt vmcnt(2)
	v_mul_u32_u24_e32 v126, 0x10001, v126
	v_lshlrev_b16 v136, 8, v120
	v_and_b32_e32 v137, 0xf00, v120
	v_lshrrev_b32_e32 v120, 16, v120
	v_add_nc_u16 v136, 0xf800, v136
	v_or_b32_sdwa v136, v137, v136 dst_sel:DWORD dst_unused:UNUSED_PAD src0_sel:DWORD src1_sel:BYTE_1
	v_lshlrev_b16 v137, 8, v120
	v_and_b32_e32 v120, 0xf00, v120
	s_waitcnt vmcnt(0)
	v_mul_u32_u24_e32 v135, 0x10001, v135
	v_add_nc_u16 v136, 0xf800, v136
	v_add_nc_u16 v137, 0xf800, v137
	v_or_b32_sdwa v120, v120, v137 dst_sel:DWORD dst_unused:UNUSED_PAD src0_sel:DWORD src1_sel:BYTE_1
	v_lshrrev_b32_e32 v137, 8, v136
	v_cvt_f16_i16_sdwa v136, sext(v136) dst_sel:DWORD dst_unused:UNUSED_PAD src0_sel:BYTE_0
	v_add_nc_u16 v120, 0xf800, v120
	v_cvt_f16_i16_sdwa v137, sext(v137) dst_sel:DWORD dst_unused:UNUSED_PAD src0_sel:BYTE_0
	v_pack_b32_f16 v136, v136, v137
	v_lshrrev_b32_e32 v137, 8, v120
	v_cvt_f16_i16_sdwa v120, sext(v120) dst_sel:DWORD dst_unused:UNUSED_PAD src0_sel:BYTE_0
	v_pk_mul_f16 v136, v136, v126
	v_cvt_f16_i16_sdwa v137, sext(v137) dst_sel:DWORD dst_unused:UNUSED_PAD src0_sel:BYTE_0
	v_pk_fma_f16 v131, v136, v119, v131
	v_pack_b32_f16 v120, v120, v137
	v_pk_mul_f16 v120, v120, v126
	v_ashrrev_i32_e32 v126, v105, v128
	v_pk_fma_f16 v25, v120, v119, v25
	v_and_b32_e32 v126, 0xf0f0f0f, v126
	v_lshlrev_b16 v128, 8, v126
	v_and_b32_e32 v137, 0xf00, v126
	v_lshrrev_b32_e32 v126, 16, v126
	v_add_nc_u16 v128, 0xf800, v128
	v_or_b32_sdwa v128, v137, v128 dst_sel:DWORD dst_unused:UNUSED_PAD src0_sel:DWORD src1_sel:BYTE_1
	v_lshlrev_b16 v137, 8, v126
	v_and_b32_e32 v126, 0xf00, v126
	v_add_nc_u16 v128, 0xf800, v128
	v_add_nc_u16 v137, 0xf800, v137
	v_or_b32_sdwa v126, v126, v137 dst_sel:DWORD dst_unused:UNUSED_PAD src0_sel:DWORD src1_sel:BYTE_1
	v_lshrrev_b32_e32 v137, 8, v128
	v_cvt_f16_i16_sdwa v128, sext(v128) dst_sel:DWORD dst_unused:UNUSED_PAD src0_sel:BYTE_0
	v_add_nc_u16 v126, 0xf800, v126
	v_cvt_f16_i16_sdwa v137, sext(v137) dst_sel:DWORD dst_unused:UNUSED_PAD src0_sel:BYTE_0
	v_pack_b32_f16 v128, v128, v137
	v_lshrrev_b32_e32 v137, 8, v126
	v_cvt_f16_i16_sdwa v126, sext(v126) dst_sel:DWORD dst_unused:UNUSED_PAD src0_sel:BYTE_0
	v_pk_mul_f16 v128, v128, v135
	v_cvt_f16_i16_sdwa v137, sext(v137) dst_sel:DWORD dst_unused:UNUSED_PAD src0_sel:BYTE_0
	v_pk_fma_f16 v124, v128, v119, v124
	v_pack_b32_f16 v126, v126, v137
	v_pk_mul_f16 v126, v126, v135
	v_pk_fma_f16 v108, v126, v119, v108
	v_add_co_u32 v119, vcc_lo, v59, s8
	v_add_co_ci_u32_e64 v120, null, 0, v92, vcc_lo
	global_load_dword v126, v[119:120], off
	v_add_co_u32 v119, vcc_lo, v184, s8
	v_add_co_ci_u32_e64 v120, null, 0, v186, vcc_lo
	global_load_ushort v128, v[119:120], off
	v_add_co_u32 v119, vcc_lo, v101, s8
	v_add_co_ci_u32_e64 v120, null, 0, v104, vcc_lo
	global_load_dword v135, v[119:120], off
	v_add_co_u32 v119, vcc_lo, v76, s8
	v_add_co_ci_u32_e64 v120, null, 0, v58, vcc_lo
	global_load_ushort v119, v[119:120], off
	s_waitcnt vmcnt(3)
	v_ashrrev_i32_e32 v120, v105, v126
	v_and_b32_e32 v120, 0xf0f0f0f, v120
	s_waitcnt vmcnt(2)
	v_mul_u32_u24_e32 v128, 0x10001, v128
	v_lshlrev_b16 v126, 8, v120
	v_and_b32_e32 v136, 0xf00, v120
	v_lshrrev_b32_e32 v120, 16, v120
	v_add_nc_u16 v126, 0xf800, v126
	v_or_b32_sdwa v126, v136, v126 dst_sel:DWORD dst_unused:UNUSED_PAD src0_sel:DWORD src1_sel:BYTE_1
	v_lshlrev_b16 v136, 8, v120
	v_and_b32_e32 v120, 0xf00, v120
	s_waitcnt vmcnt(0)
	v_mul_u32_u24_e32 v119, 0x10001, v119
	v_add_nc_u16 v126, 0xf800, v126
	v_add_nc_u16 v136, 0xf800, v136
	v_or_b32_sdwa v120, v120, v136 dst_sel:DWORD dst_unused:UNUSED_PAD src0_sel:DWORD src1_sel:BYTE_1
	v_lshrrev_b32_e32 v136, 8, v126
	v_cvt_f16_i16_sdwa v126, sext(v126) dst_sel:DWORD dst_unused:UNUSED_PAD src0_sel:BYTE_0
	v_add_nc_u16 v120, 0xf800, v120
	v_cvt_f16_i16_sdwa v136, sext(v136) dst_sel:DWORD dst_unused:UNUSED_PAD src0_sel:BYTE_0
	v_pack_b32_f16 v126, v126, v136
	v_lshrrev_b32_e32 v136, 8, v120
	v_cvt_f16_i16_sdwa v120, sext(v120) dst_sel:DWORD dst_unused:UNUSED_PAD src0_sel:BYTE_0
	v_pk_mul_f16 v126, v126, v128
	v_cvt_f16_i16_sdwa v136, sext(v136) dst_sel:DWORD dst_unused:UNUSED_PAD src0_sel:BYTE_0
	v_pk_fma_f16 v126, v126, v116, v131
	v_pack_b32_f16 v120, v120, v136
	v_pk_mul_f16 v120, v120, v128
	v_ashrrev_i32_e32 v128, v105, v135
	v_pk_fma_f16 v25, v120, v116, v25
	v_and_b32_e32 v128, 0xf0f0f0f, v128
	v_lshlrev_b16 v135, 8, v128
	v_and_b32_e32 v136, 0xf00, v128
	v_lshrrev_b32_e32 v128, 16, v128
	v_add_nc_u16 v135, 0xf800, v135
	v_or_b32_sdwa v135, v136, v135 dst_sel:DWORD dst_unused:UNUSED_PAD src0_sel:DWORD src1_sel:BYTE_1
	v_lshlrev_b16 v136, 8, v128
	v_and_b32_e32 v128, 0xf00, v128
	v_add_nc_u16 v135, 0xf800, v135
	v_add_nc_u16 v136, 0xf800, v136
	v_or_b32_sdwa v128, v128, v136 dst_sel:DWORD dst_unused:UNUSED_PAD src0_sel:DWORD src1_sel:BYTE_1
	v_lshrrev_b32_e32 v136, 8, v135
	v_cvt_f16_i16_sdwa v135, sext(v135) dst_sel:DWORD dst_unused:UNUSED_PAD src0_sel:BYTE_0
	v_add_nc_u16 v128, 0xf800, v128
	v_cvt_f16_i16_sdwa v136, sext(v136) dst_sel:DWORD dst_unused:UNUSED_PAD src0_sel:BYTE_0
	v_pack_b32_f16 v135, v135, v136
	v_lshrrev_b32_e32 v136, 8, v128
	v_cvt_f16_i16_sdwa v128, sext(v128) dst_sel:DWORD dst_unused:UNUSED_PAD src0_sel:BYTE_0
	v_pk_mul_f16 v135, v135, v119
	v_cvt_f16_i16_sdwa v136, sext(v136) dst_sel:DWORD dst_unused:UNUSED_PAD src0_sel:BYTE_0
	v_pk_fma_f16 v124, v135, v116, v124
	v_pack_b32_f16 v128, v128, v136
	v_pk_mul_f16 v119, v128, v119
	v_pk_fma_f16 v108, v119, v116, v108
	v_add_co_u32 v119, vcc_lo, v102, s8
	v_add_co_ci_u32_e64 v120, null, 0, v103, vcc_lo
	global_load_dword v116, v[119:120], off
	v_add_co_u32 v119, vcc_lo, v72, s8
	v_add_co_ci_u32_e64 v120, null, 0, v73, vcc_lo
	global_load_ushort v128, v[119:120], off
	v_add_co_u32 v119, vcc_lo, v99, s8
	v_add_co_ci_u32_e64 v120, null, 0, v96, vcc_lo
	global_load_dword v131, v[119:120], off
	v_add_co_u32 v119, vcc_lo, v100, s8
	v_add_co_ci_u32_e64 v120, null, 0, v57, vcc_lo
	v_mov_b32_e32 v57, v54
	v_mov_b32_e32 v54, v1
	global_load_ushort v119, v[119:120], off
	s_waitcnt vmcnt(3)
	v_ashrrev_i32_e32 v116, v105, v116
	v_and_b32_e32 v116, 0xf0f0f0f, v116
	s_waitcnt vmcnt(2)
	v_mul_u32_u24_e32 v128, 0x10001, v128
	v_lshlrev_b16 v120, 8, v116
	v_and_b32_e32 v135, 0xf00, v116
	v_lshrrev_b32_e32 v116, 16, v116
	v_add_nc_u16 v120, 0xf800, v120
	v_or_b32_sdwa v120, v135, v120 dst_sel:DWORD dst_unused:UNUSED_PAD src0_sel:DWORD src1_sel:BYTE_1
	v_lshlrev_b16 v135, 8, v116
	v_and_b32_e32 v116, 0xf00, v116
	s_waitcnt vmcnt(0)
	v_mul_u32_u24_e32 v119, 0x10001, v119
	v_add_nc_u16 v120, 0xf800, v120
	v_add_nc_u16 v135, 0xf800, v135
	v_or_b32_sdwa v116, v116, v135 dst_sel:DWORD dst_unused:UNUSED_PAD src0_sel:DWORD src1_sel:BYTE_1
	v_lshrrev_b32_e32 v135, 8, v120
	v_cvt_f16_i16_sdwa v120, sext(v120) dst_sel:DWORD dst_unused:UNUSED_PAD src0_sel:BYTE_0
	v_add_nc_u16 v116, 0xf800, v116
	v_cvt_f16_i16_sdwa v135, sext(v135) dst_sel:DWORD dst_unused:UNUSED_PAD src0_sel:BYTE_0
	v_pack_b32_f16 v120, v120, v135
	v_lshrrev_b32_e32 v135, 8, v116
	v_cvt_f16_i16_sdwa v116, sext(v116) dst_sel:DWORD dst_unused:UNUSED_PAD src0_sel:BYTE_0
	v_pk_mul_f16 v120, v120, v128
	v_cvt_f16_i16_sdwa v135, sext(v135) dst_sel:DWORD dst_unused:UNUSED_PAD src0_sel:BYTE_0
	v_pk_fma_f16 v120, v120, v109, v126
	v_pack_b32_f16 v116, v116, v135
	v_pk_mul_f16 v116, v116, v128
	v_ashrrev_i32_e32 v128, v105, v131
	v_pk_fma_f16 v25, v116, v109, v25
	v_and_b32_e32 v128, 0xf0f0f0f, v128
	v_lshlrev_b16 v131, 8, v128
	v_and_b32_e32 v135, 0xf00, v128
	v_lshrrev_b32_e32 v128, 16, v128
	v_add_nc_u16 v131, 0xf800, v131
	v_or_b32_sdwa v131, v135, v131 dst_sel:DWORD dst_unused:UNUSED_PAD src0_sel:DWORD src1_sel:BYTE_1
	v_lshlrev_b16 v135, 8, v128
	v_and_b32_e32 v128, 0xf00, v128
	v_add_nc_u16 v131, 0xf800, v131
	v_add_nc_u16 v135, 0xf800, v135
	v_or_b32_sdwa v128, v128, v135 dst_sel:DWORD dst_unused:UNUSED_PAD src0_sel:DWORD src1_sel:BYTE_1
	v_lshrrev_b32_e32 v135, 8, v131
	v_cvt_f16_i16_sdwa v131, sext(v131) dst_sel:DWORD dst_unused:UNUSED_PAD src0_sel:BYTE_0
	v_add_nc_u16 v128, 0xf800, v128
	v_cvt_f16_i16_sdwa v135, sext(v135) dst_sel:DWORD dst_unused:UNUSED_PAD src0_sel:BYTE_0
	v_pack_b32_f16 v131, v131, v135
	v_lshrrev_b32_e32 v135, 8, v128
	v_cvt_f16_i16_sdwa v128, sext(v128) dst_sel:DWORD dst_unused:UNUSED_PAD src0_sel:BYTE_0
	v_pk_mul_f16 v131, v131, v119
	v_cvt_f16_i16_sdwa v135, sext(v135) dst_sel:DWORD dst_unused:UNUSED_PAD src0_sel:BYTE_0
	v_pk_fma_f16 v116, v131, v109, v124
	v_pack_b32_f16 v128, v128, v135
	v_pk_mul_f16 v119, v128, v119
	v_pk_fma_f16 v119, v119, v109, v108
	v_add_co_u32 v108, vcc_lo, v94, s8
	v_add_co_ci_u32_e64 v109, null, 0, v95, vcc_lo
	global_load_dword v124, v[108:109], off
	v_add_co_u32 v108, vcc_lo, v52, s8
	v_add_co_ci_u32_e64 v109, null, 0, v98, vcc_lo
	v_mov_b32_e32 v52, v0
	global_load_ushort v126, v[108:109], off
	v_add_co_u32 v108, vcc_lo, v90, s8
	v_add_co_ci_u32_e64 v109, null, 0, v91, vcc_lo
	global_load_dword v128, v[108:109], off
	v_add_co_u32 v108, vcc_lo, v48, s8
	v_add_co_ci_u32_e64 v109, null, 0, v93, vcc_lo
	global_load_ushort v108, v[108:109], off
	s_waitcnt vmcnt(3)
	v_ashrrev_i32_e32 v109, v105, v124
	v_and_b32_e32 v109, 0xf0f0f0f, v109
	s_waitcnt vmcnt(2)
	v_mul_u32_u24_e32 v126, 0x10001, v126
	v_lshlrev_b16 v124, 8, v109
	v_and_b32_e32 v131, 0xf00, v109
	v_lshrrev_b32_e32 v109, 16, v109
	v_add_nc_u16 v124, 0xf800, v124
	v_or_b32_sdwa v124, v131, v124 dst_sel:DWORD dst_unused:UNUSED_PAD src0_sel:DWORD src1_sel:BYTE_1
	v_lshlrev_b16 v131, 8, v109
	v_and_b32_e32 v109, 0xf00, v109
	s_waitcnt vmcnt(0)
	v_mul_u32_u24_e32 v108, 0x10001, v108
	v_add_nc_u16 v124, 0xf800, v124
	v_add_nc_u16 v131, 0xf800, v131
	v_or_b32_sdwa v109, v109, v131 dst_sel:DWORD dst_unused:UNUSED_PAD src0_sel:DWORD src1_sel:BYTE_1
	v_lshrrev_b32_e32 v131, 8, v124
	v_cvt_f16_i16_sdwa v124, sext(v124) dst_sel:DWORD dst_unused:UNUSED_PAD src0_sel:BYTE_0
	v_add_nc_u16 v109, 0xf800, v109
	v_cvt_f16_i16_sdwa v131, sext(v131) dst_sel:DWORD dst_unused:UNUSED_PAD src0_sel:BYTE_0
	v_pack_b32_f16 v124, v124, v131
	v_lshrrev_b32_e32 v131, 8, v109
	v_cvt_f16_i16_sdwa v109, sext(v109) dst_sel:DWORD dst_unused:UNUSED_PAD src0_sel:BYTE_0
	v_pk_mul_f16 v124, v124, v126
	v_cvt_f16_i16_sdwa v131, sext(v131) dst_sel:DWORD dst_unused:UNUSED_PAD src0_sel:BYTE_0
	v_pk_fma_f16 v120, v124, v110, v120
	v_pack_b32_f16 v109, v109, v131
	v_pk_mul_f16 v109, v109, v126
	v_ashrrev_i32_e32 v126, v105, v128
	v_pk_fma_f16 v25, v109, v110, v25
	v_and_b32_e32 v126, 0xf0f0f0f, v126
	v_lshlrev_b16 v128, 8, v126
	v_and_b32_e32 v131, 0xf00, v126
	v_lshrrev_b32_e32 v126, 16, v126
	v_add_nc_u16 v128, 0xf800, v128
	v_or_b32_sdwa v128, v131, v128 dst_sel:DWORD dst_unused:UNUSED_PAD src0_sel:DWORD src1_sel:BYTE_1
	v_lshlrev_b16 v131, 8, v126
	v_and_b32_e32 v126, 0xf00, v126
	v_add_nc_u16 v128, 0xf800, v128
	v_add_nc_u16 v131, 0xf800, v131
	v_or_b32_sdwa v126, v126, v131 dst_sel:DWORD dst_unused:UNUSED_PAD src0_sel:DWORD src1_sel:BYTE_1
	v_lshrrev_b32_e32 v131, 8, v128
	v_cvt_f16_i16_sdwa v128, sext(v128) dst_sel:DWORD dst_unused:UNUSED_PAD src0_sel:BYTE_0
	v_add_nc_u16 v126, 0xf800, v126
	v_cvt_f16_i16_sdwa v131, sext(v131) dst_sel:DWORD dst_unused:UNUSED_PAD src0_sel:BYTE_0
	v_pack_b32_f16 v128, v128, v131
	v_lshrrev_b32_e32 v131, 8, v126
	v_cvt_f16_i16_sdwa v126, sext(v126) dst_sel:DWORD dst_unused:UNUSED_PAD src0_sel:BYTE_0
	v_pk_mul_f16 v128, v128, v108
	v_cvt_f16_i16_sdwa v131, sext(v131) dst_sel:DWORD dst_unused:UNUSED_PAD src0_sel:BYTE_0
	v_pk_fma_f16 v116, v128, v110, v116
	v_pack_b32_f16 v126, v126, v131
	v_pk_mul_f16 v108, v126, v108
	v_pk_fma_f16 v110, v108, v110, v119
	v_add_co_u32 v108, vcc_lo, v86, s8
	v_add_co_ci_u32_e64 v109, null, 0, v87, vcc_lo
	global_load_dword v119, v[108:109], off
	v_add_co_u32 v108, vcc_lo, v88, s8
	v_add_co_ci_u32_e64 v109, null, 0, v89, vcc_lo
	global_load_ushort v124, v[108:109], off
	v_add_co_u32 v108, vcc_lo, v82, s8
	v_add_co_ci_u32_e64 v109, null, 0, v83, vcc_lo
	global_load_dword v126, v[108:109], off
	v_add_co_u32 v108, vcc_lo, v84, s8
	v_add_co_ci_u32_e64 v109, null, 0, v85, vcc_lo
	global_load_ushort v108, v[108:109], off
	s_waitcnt vmcnt(3)
	v_ashrrev_i32_e32 v109, v105, v119
	v_and_b32_e32 v109, 0xf0f0f0f, v109
	s_waitcnt vmcnt(2)
	v_mul_u32_u24_e32 v124, 0x10001, v124
	v_lshlrev_b16 v119, 8, v109
	v_and_b32_e32 v128, 0xf00, v109
	v_lshrrev_b32_e32 v109, 16, v109
	v_add_nc_u16 v119, 0xf800, v119
	v_or_b32_sdwa v119, v128, v119 dst_sel:DWORD dst_unused:UNUSED_PAD src0_sel:DWORD src1_sel:BYTE_1
	v_lshlrev_b16 v128, 8, v109
	v_and_b32_e32 v109, 0xf00, v109
	s_waitcnt vmcnt(0)
	v_mul_u32_u24_e32 v108, 0x10001, v108
	v_add_nc_u16 v119, 0xf800, v119
	v_add_nc_u16 v128, 0xf800, v128
	v_or_b32_sdwa v109, v109, v128 dst_sel:DWORD dst_unused:UNUSED_PAD src0_sel:DWORD src1_sel:BYTE_1
	v_lshrrev_b32_e32 v128, 8, v119
	v_cvt_f16_i16_sdwa v119, sext(v119) dst_sel:DWORD dst_unused:UNUSED_PAD src0_sel:BYTE_0
	v_add_nc_u16 v109, 0xf800, v109
	v_cvt_f16_i16_sdwa v128, sext(v128) dst_sel:DWORD dst_unused:UNUSED_PAD src0_sel:BYTE_0
	v_pack_b32_f16 v119, v119, v128
	v_lshrrev_b32_e32 v128, 8, v109
	v_cvt_f16_i16_sdwa v109, sext(v109) dst_sel:DWORD dst_unused:UNUSED_PAD src0_sel:BYTE_0
	v_pk_mul_f16 v119, v119, v124
	v_cvt_f16_i16_sdwa v128, sext(v128) dst_sel:DWORD dst_unused:UNUSED_PAD src0_sel:BYTE_0
	v_pk_fma_f16 v119, v119, v111, v120
	v_pack_b32_f16 v109, v109, v128
	v_pk_mul_f16 v109, v109, v124
	v_ashrrev_i32_e32 v124, v105, v126
	v_pk_fma_f16 v25, v109, v111, v25
	v_and_b32_e32 v124, 0xf0f0f0f, v124
	v_lshlrev_b16 v126, 8, v124
	v_and_b32_e32 v128, 0xf00, v124
	v_lshrrev_b32_e32 v124, 16, v124
	v_add_nc_u16 v126, 0xf800, v126
	v_or_b32_sdwa v126, v128, v126 dst_sel:DWORD dst_unused:UNUSED_PAD src0_sel:DWORD src1_sel:BYTE_1
	v_lshlrev_b16 v128, 8, v124
	v_and_b32_e32 v124, 0xf00, v124
	v_add_nc_u16 v126, 0xf800, v126
	v_add_nc_u16 v128, 0xf800, v128
	v_or_b32_sdwa v124, v124, v128 dst_sel:DWORD dst_unused:UNUSED_PAD src0_sel:DWORD src1_sel:BYTE_1
	v_lshrrev_b32_e32 v128, 8, v126
	v_cvt_f16_i16_sdwa v126, sext(v126) dst_sel:DWORD dst_unused:UNUSED_PAD src0_sel:BYTE_0
	v_add_nc_u16 v124, 0xf800, v124
	v_cvt_f16_i16_sdwa v128, sext(v128) dst_sel:DWORD dst_unused:UNUSED_PAD src0_sel:BYTE_0
	v_pack_b32_f16 v126, v126, v128
	v_lshrrev_b32_e32 v128, 8, v124
	v_cvt_f16_i16_sdwa v124, sext(v124) dst_sel:DWORD dst_unused:UNUSED_PAD src0_sel:BYTE_0
	v_pk_mul_f16 v126, v126, v108
	v_cvt_f16_i16_sdwa v128, sext(v128) dst_sel:DWORD dst_unused:UNUSED_PAD src0_sel:BYTE_0
	v_pk_fma_f16 v116, v126, v111, v116
	v_pack_b32_f16 v124, v124, v128
	v_pk_mul_f16 v108, v124, v108
	v_pk_fma_f16 v110, v108, v111, v110
	v_add_co_u32 v108, vcc_lo, v78, s8
	v_add_co_ci_u32_e64 v109, null, 0, v79, vcc_lo
	global_load_dword v111, v[108:109], off
	v_add_co_u32 v108, vcc_lo, v80, s8
	v_add_co_ci_u32_e64 v109, null, 0, v81, vcc_lo
	global_load_ushort v120, v[108:109], off
	v_add_co_u32 v108, vcc_lo, v74, s8
	v_add_co_ci_u32_e64 v109, null, 0, v75, vcc_lo
	global_load_dword v124, v[108:109], off
	v_add_co_u32 v108, vcc_lo, v70, s8
	v_add_co_ci_u32_e64 v109, null, 0, v77, vcc_lo
	global_load_ushort v108, v[108:109], off
	s_waitcnt vmcnt(3)
	v_ashrrev_i32_e32 v109, v105, v111
	v_and_b32_e32 v109, 0xf0f0f0f, v109
	s_waitcnt vmcnt(2)
	v_mul_u32_u24_e32 v120, 0x10001, v120
	v_lshlrev_b16 v111, 8, v109
	v_and_b32_e32 v126, 0xf00, v109
	v_lshrrev_b32_e32 v109, 16, v109
	v_add_nc_u16 v111, 0xf800, v111
	v_or_b32_sdwa v111, v126, v111 dst_sel:DWORD dst_unused:UNUSED_PAD src0_sel:DWORD src1_sel:BYTE_1
	v_lshlrev_b16 v126, 8, v109
	v_and_b32_e32 v109, 0xf00, v109
	s_waitcnt vmcnt(0)
	v_mul_u32_u24_e32 v108, 0x10001, v108
	v_add_nc_u16 v111, 0xf800, v111
	v_add_nc_u16 v126, 0xf800, v126
	v_or_b32_sdwa v109, v109, v126 dst_sel:DWORD dst_unused:UNUSED_PAD src0_sel:DWORD src1_sel:BYTE_1
	v_lshrrev_b32_e32 v126, 8, v111
	v_cvt_f16_i16_sdwa v111, sext(v111) dst_sel:DWORD dst_unused:UNUSED_PAD src0_sel:BYTE_0
	v_add_nc_u16 v109, 0xf800, v109
	v_cvt_f16_i16_sdwa v126, sext(v126) dst_sel:DWORD dst_unused:UNUSED_PAD src0_sel:BYTE_0
	v_pack_b32_f16 v111, v111, v126
	v_lshrrev_b32_e32 v126, 8, v109
	v_cvt_f16_i16_sdwa v109, sext(v109) dst_sel:DWORD dst_unused:UNUSED_PAD src0_sel:BYTE_0
	v_pk_mul_f16 v111, v111, v120
	v_cvt_f16_i16_sdwa v126, sext(v126) dst_sel:DWORD dst_unused:UNUSED_PAD src0_sel:BYTE_0
	v_pk_fma_f16 v111, v111, v112, v119
	v_pack_b32_f16 v109, v109, v126
	v_pk_mul_f16 v109, v109, v120
	v_ashrrev_i32_e32 v120, v105, v124
	v_pk_fma_f16 v25, v109, v112, v25
	v_and_b32_e32 v120, 0xf0f0f0f, v120
	v_lshlrev_b16 v124, 8, v120
	v_and_b32_e32 v126, 0xf00, v120
	v_lshrrev_b32_e32 v120, 16, v120
	v_add_nc_u16 v124, 0xf800, v124
	v_or_b32_sdwa v124, v126, v124 dst_sel:DWORD dst_unused:UNUSED_PAD src0_sel:DWORD src1_sel:BYTE_1
	v_lshlrev_b16 v126, 8, v120
	v_and_b32_e32 v120, 0xf00, v120
	v_add_nc_u16 v124, 0xf800, v124
	v_add_nc_u16 v126, 0xf800, v126
	v_or_b32_sdwa v120, v120, v126 dst_sel:DWORD dst_unused:UNUSED_PAD src0_sel:DWORD src1_sel:BYTE_1
	v_lshrrev_b32_e32 v126, 8, v124
	v_cvt_f16_i16_sdwa v124, sext(v124) dst_sel:DWORD dst_unused:UNUSED_PAD src0_sel:BYTE_0
	v_add_nc_u16 v120, 0xf800, v120
	v_cvt_f16_i16_sdwa v126, sext(v126) dst_sel:DWORD dst_unused:UNUSED_PAD src0_sel:BYTE_0
	v_pack_b32_f16 v124, v124, v126
	v_lshrrev_b32_e32 v126, 8, v120
	v_cvt_f16_i16_sdwa v120, sext(v120) dst_sel:DWORD dst_unused:UNUSED_PAD src0_sel:BYTE_0
	v_pk_mul_f16 v124, v124, v108
	v_cvt_f16_i16_sdwa v126, sext(v126) dst_sel:DWORD dst_unused:UNUSED_PAD src0_sel:BYTE_0
	v_pk_fma_f16 v116, v124, v112, v116
	v_pack_b32_f16 v120, v120, v126
	v_pk_mul_f16 v108, v120, v108
	v_pk_fma_f16 v110, v108, v112, v110
	v_add_co_u32 v108, vcc_lo, v129, s8
	v_add_co_ci_u32_e64 v109, null, 0, v71, vcc_lo
	global_load_dword v112, v[108:109], off
	v_add_co_u32 v108, vcc_lo, v29, s8
	v_add_co_ci_u32_e64 v109, null, 0, v30, vcc_lo
	global_load_ushort v119, v[108:109], off
	v_add_co_u32 v108, vcc_lo, v55, s8
	v_add_co_ci_u32_e64 v109, null, 0, v57, vcc_lo
	global_load_dword v120, v[108:109], off
	v_add_co_u32 v108, vcc_lo, v56, s8
	v_add_co_ci_u32_e64 v109, null, 0, v28, vcc_lo
	global_load_ushort v108, v[108:109], off
	s_waitcnt vmcnt(3)
	v_ashrrev_i32_e32 v109, v105, v112
	v_and_b32_e32 v109, 0xf0f0f0f, v109
	s_waitcnt vmcnt(2)
	v_mul_u32_u24_e32 v119, 0x10001, v119
	v_lshlrev_b16 v112, 8, v109
	v_and_b32_e32 v124, 0xf00, v109
	v_lshrrev_b32_e32 v109, 16, v109
	v_add_nc_u16 v112, 0xf800, v112
	v_or_b32_sdwa v112, v124, v112 dst_sel:DWORD dst_unused:UNUSED_PAD src0_sel:DWORD src1_sel:BYTE_1
	v_lshlrev_b16 v124, 8, v109
	v_and_b32_e32 v109, 0xf00, v109
	s_waitcnt vmcnt(0)
	v_mul_u32_u24_e32 v108, 0x10001, v108
	v_add_nc_u16 v112, 0xf800, v112
	v_add_nc_u16 v124, 0xf800, v124
	v_or_b32_sdwa v109, v109, v124 dst_sel:DWORD dst_unused:UNUSED_PAD src0_sel:DWORD src1_sel:BYTE_1
	v_lshrrev_b32_e32 v124, 8, v112
	v_cvt_f16_i16_sdwa v112, sext(v112) dst_sel:DWORD dst_unused:UNUSED_PAD src0_sel:BYTE_0
	v_add_nc_u16 v109, 0xf800, v109
	v_cvt_f16_i16_sdwa v124, sext(v124) dst_sel:DWORD dst_unused:UNUSED_PAD src0_sel:BYTE_0
	v_pack_b32_f16 v112, v112, v124
	v_lshrrev_b32_e32 v124, 8, v109
	v_cvt_f16_i16_sdwa v109, sext(v109) dst_sel:DWORD dst_unused:UNUSED_PAD src0_sel:BYTE_0
	v_pk_mul_f16 v112, v112, v119
	v_cvt_f16_i16_sdwa v124, sext(v124) dst_sel:DWORD dst_unused:UNUSED_PAD src0_sel:BYTE_0
	v_pk_fma_f16 v111, v112, v113, v111
	v_pack_b32_f16 v109, v109, v124
	v_pk_mul_f16 v109, v109, v119
	v_ashrrev_i32_e32 v119, v105, v120
	v_pk_fma_f16 v25, v109, v113, v25
	v_and_b32_e32 v119, 0xf0f0f0f, v119
	v_lshlrev_b16 v120, 8, v119
	v_and_b32_e32 v124, 0xf00, v119
	v_lshrrev_b32_e32 v119, 16, v119
	v_add_nc_u16 v120, 0xf800, v120
	v_or_b32_sdwa v120, v124, v120 dst_sel:DWORD dst_unused:UNUSED_PAD src0_sel:DWORD src1_sel:BYTE_1
	v_lshlrev_b16 v124, 8, v119
	v_and_b32_e32 v119, 0xf00, v119
	v_add_nc_u16 v120, 0xf800, v120
	v_add_nc_u16 v124, 0xf800, v124
	v_or_b32_sdwa v119, v119, v124 dst_sel:DWORD dst_unused:UNUSED_PAD src0_sel:DWORD src1_sel:BYTE_1
	v_lshrrev_b32_e32 v124, 8, v120
	v_cvt_f16_i16_sdwa v120, sext(v120) dst_sel:DWORD dst_unused:UNUSED_PAD src0_sel:BYTE_0
	v_add_nc_u16 v119, 0xf800, v119
	v_cvt_f16_i16_sdwa v124, sext(v124) dst_sel:DWORD dst_unused:UNUSED_PAD src0_sel:BYTE_0
	v_pack_b32_f16 v120, v120, v124
	v_lshrrev_b32_e32 v124, 8, v119
	v_cvt_f16_i16_sdwa v119, sext(v119) dst_sel:DWORD dst_unused:UNUSED_PAD src0_sel:BYTE_0
	v_pk_mul_f16 v120, v120, v108
	v_cvt_f16_i16_sdwa v124, sext(v124) dst_sel:DWORD dst_unused:UNUSED_PAD src0_sel:BYTE_0
	v_pk_fma_f16 v112, v120, v113, v116
	v_pack_b32_f16 v119, v119, v124
	v_pk_mul_f16 v108, v119, v108
	v_pk_fma_f16 v110, v108, v113, v110
	v_add_co_u32 v108, vcc_lo, v0, s8
	v_add_co_ci_u32_e64 v109, null, 0, v51, vcc_lo
	v_mov_b32_e32 v0, v229
	global_load_dword v113, v[108:109], off
	v_add_co_u32 v108, vcc_lo, v53, s8
	v_add_co_ci_u32_e64 v109, null, 0, v26, vcc_lo
	global_load_ushort v116, v[108:109], off
	v_add_co_u32 v108, vcc_lo, v47, s8
	v_add_co_ci_u32_e64 v109, null, 0, v1, vcc_lo
	v_mov_b32_e32 v1, v60
	global_load_dword v119, v[108:109], off
	v_add_co_u32 v108, vcc_lo, v49, s8
	v_add_co_ci_u32_e64 v109, null, 0, v50, vcc_lo
	global_load_ushort v108, v[108:109], off
	s_waitcnt vmcnt(3)
	v_ashrrev_i32_e32 v109, v105, v113
	v_and_b32_e32 v109, 0xf0f0f0f, v109
	s_waitcnt vmcnt(2)
	v_mul_u32_u24_e32 v116, 0x10001, v116
	v_lshlrev_b16 v113, 8, v109
	v_and_b32_e32 v120, 0xf00, v109
	v_lshrrev_b32_e32 v109, 16, v109
	v_add_nc_u16 v113, 0xf800, v113
	v_or_b32_sdwa v113, v120, v113 dst_sel:DWORD dst_unused:UNUSED_PAD src0_sel:DWORD src1_sel:BYTE_1
	v_lshlrev_b16 v120, 8, v109
	v_and_b32_e32 v109, 0xf00, v109
	s_waitcnt vmcnt(0)
	v_mul_u32_u24_e32 v108, 0x10001, v108
	v_add_nc_u16 v113, 0xf800, v113
	v_add_nc_u16 v120, 0xf800, v120
	v_or_b32_sdwa v109, v109, v120 dst_sel:DWORD dst_unused:UNUSED_PAD src0_sel:DWORD src1_sel:BYTE_1
	v_lshrrev_b32_e32 v120, 8, v113
	v_cvt_f16_i16_sdwa v113, sext(v113) dst_sel:DWORD dst_unused:UNUSED_PAD src0_sel:BYTE_0
	v_add_nc_u16 v109, 0xf800, v109
	v_cvt_f16_i16_sdwa v120, sext(v120) dst_sel:DWORD dst_unused:UNUSED_PAD src0_sel:BYTE_0
	v_pack_b32_f16 v113, v113, v120
	v_lshrrev_b32_e32 v120, 8, v109
	v_cvt_f16_i16_sdwa v109, sext(v109) dst_sel:DWORD dst_unused:UNUSED_PAD src0_sel:BYTE_0
	v_pk_mul_f16 v113, v113, v116
	v_cvt_f16_i16_sdwa v120, sext(v120) dst_sel:DWORD dst_unused:UNUSED_PAD src0_sel:BYTE_0
	v_pk_fma_f16 v111, v113, v114, v111
	v_pack_b32_f16 v109, v109, v120
	v_pk_mul_f16 v109, v109, v116
	v_ashrrev_i32_e32 v116, v105, v119
	v_pk_fma_f16 v25, v109, v114, v25
	v_and_b32_e32 v116, 0xf0f0f0f, v116
	v_lshlrev_b16 v119, 8, v116
	v_and_b32_e32 v120, 0xf00, v116
	v_lshrrev_b32_e32 v116, 16, v116
	v_add_nc_u16 v119, 0xf800, v119
	v_or_b32_sdwa v119, v120, v119 dst_sel:DWORD dst_unused:UNUSED_PAD src0_sel:DWORD src1_sel:BYTE_1
	v_lshlrev_b16 v120, 8, v116
	v_and_b32_e32 v116, 0xf00, v116
	v_add_nc_u16 v119, 0xf800, v119
	v_add_nc_u16 v120, 0xf800, v120
	v_or_b32_sdwa v116, v116, v120 dst_sel:DWORD dst_unused:UNUSED_PAD src0_sel:DWORD src1_sel:BYTE_1
	v_lshrrev_b32_e32 v120, 8, v119
	v_cvt_f16_i16_sdwa v119, sext(v119) dst_sel:DWORD dst_unused:UNUSED_PAD src0_sel:BYTE_0
	v_add_nc_u16 v116, 0xf800, v116
	v_cvt_f16_i16_sdwa v120, sext(v120) dst_sel:DWORD dst_unused:UNUSED_PAD src0_sel:BYTE_0
	v_pack_b32_f16 v119, v119, v120
	v_lshrrev_b32_e32 v120, 8, v116
	v_cvt_f16_i16_sdwa v116, sext(v116) dst_sel:DWORD dst_unused:UNUSED_PAD src0_sel:BYTE_0
	v_pk_mul_f16 v119, v119, v108
	v_cvt_f16_i16_sdwa v120, sext(v120) dst_sel:DWORD dst_unused:UNUSED_PAD src0_sel:BYTE_0
	v_pk_fma_f16 v112, v119, v114, v112
	v_pack_b32_f16 v116, v116, v120
	v_pk_mul_f16 v108, v116, v108
	v_pk_fma_f16 v110, v108, v114, v110
	v_add_co_u32 v108, vcc_lo, v43, s8
	v_add_co_ci_u32_e64 v109, null, 0, v44, vcc_lo
	global_load_dword v113, v[108:109], off
	v_add_co_u32 v108, vcc_lo, v45, s8
	v_add_co_ci_u32_e64 v109, null, 0, v46, vcc_lo
	global_load_ushort v114, v[108:109], off
	v_add_co_u32 v108, vcc_lo, v39, s8
	v_add_co_ci_u32_e64 v109, null, 0, v40, vcc_lo
	global_load_dword v116, v[108:109], off
	v_add_co_u32 v108, vcc_lo, v41, s8
	v_add_co_ci_u32_e64 v109, null, 0, v42, vcc_lo
	global_load_ushort v108, v[108:109], off
	s_waitcnt vmcnt(3)
	v_ashrrev_i32_e32 v109, v105, v113
	v_and_b32_e32 v109, 0xf0f0f0f, v109
	s_waitcnt vmcnt(2)
	v_mul_u32_u24_e32 v114, 0x10001, v114
	v_lshlrev_b16 v113, 8, v109
	v_and_b32_e32 v119, 0xf00, v109
	v_lshrrev_b32_e32 v109, 16, v109
	v_add_nc_u16 v113, 0xf800, v113
	v_or_b32_sdwa v113, v119, v113 dst_sel:DWORD dst_unused:UNUSED_PAD src0_sel:DWORD src1_sel:BYTE_1
	v_lshlrev_b16 v119, 8, v109
	v_and_b32_e32 v109, 0xf00, v109
	s_waitcnt vmcnt(0)
	v_mul_u32_u24_e32 v108, 0x10001, v108
	v_add_nc_u16 v113, 0xf800, v113
	v_add_nc_u16 v119, 0xf800, v119
	v_or_b32_sdwa v109, v109, v119 dst_sel:DWORD dst_unused:UNUSED_PAD src0_sel:DWORD src1_sel:BYTE_1
	v_lshrrev_b32_e32 v119, 8, v113
	v_cvt_f16_i16_sdwa v113, sext(v113) dst_sel:DWORD dst_unused:UNUSED_PAD src0_sel:BYTE_0
	v_add_nc_u16 v109, 0xf800, v109
	v_cvt_f16_i16_sdwa v119, sext(v119) dst_sel:DWORD dst_unused:UNUSED_PAD src0_sel:BYTE_0
	v_pack_b32_f16 v113, v113, v119
	v_lshrrev_b32_e32 v119, 8, v109
	v_cvt_f16_i16_sdwa v109, sext(v109) dst_sel:DWORD dst_unused:UNUSED_PAD src0_sel:BYTE_0
	v_pk_mul_f16 v113, v113, v114
	v_cvt_f16_i16_sdwa v119, sext(v119) dst_sel:DWORD dst_unused:UNUSED_PAD src0_sel:BYTE_0
	v_pk_fma_f16 v111, v113, v115, v111
	v_pack_b32_f16 v109, v109, v119
	v_pk_mul_f16 v109, v109, v114
	v_ashrrev_i32_e32 v114, v105, v116
	v_pk_fma_f16 v25, v109, v115, v25
	v_and_b32_e32 v114, 0xf0f0f0f, v114
	v_lshlrev_b16 v116, 8, v114
	v_and_b32_e32 v119, 0xf00, v114
	v_lshrrev_b32_e32 v114, 16, v114
	v_add_nc_u16 v116, 0xf800, v116
	v_or_b32_sdwa v116, v119, v116 dst_sel:DWORD dst_unused:UNUSED_PAD src0_sel:DWORD src1_sel:BYTE_1
	v_lshlrev_b16 v119, 8, v114
	v_and_b32_e32 v114, 0xf00, v114
	v_add_nc_u16 v116, 0xf800, v116
	v_add_nc_u16 v119, 0xf800, v119
	v_or_b32_sdwa v114, v114, v119 dst_sel:DWORD dst_unused:UNUSED_PAD src0_sel:DWORD src1_sel:BYTE_1
	v_lshrrev_b32_e32 v119, 8, v116
	v_cvt_f16_i16_sdwa v116, sext(v116) dst_sel:DWORD dst_unused:UNUSED_PAD src0_sel:BYTE_0
	v_add_nc_u16 v114, 0xf800, v114
	v_cvt_f16_i16_sdwa v119, sext(v119) dst_sel:DWORD dst_unused:UNUSED_PAD src0_sel:BYTE_0
	v_pack_b32_f16 v116, v116, v119
	v_lshrrev_b32_e32 v119, 8, v114
	v_cvt_f16_i16_sdwa v114, sext(v114) dst_sel:DWORD dst_unused:UNUSED_PAD src0_sel:BYTE_0
	v_pk_mul_f16 v116, v116, v108
	v_cvt_f16_i16_sdwa v119, sext(v119) dst_sel:DWORD dst_unused:UNUSED_PAD src0_sel:BYTE_0
	v_pk_fma_f16 v112, v116, v115, v112
	v_pack_b32_f16 v114, v114, v119
	v_pk_mul_f16 v108, v114, v108
	v_pk_fma_f16 v110, v108, v115, v110
	v_add_co_u32 v108, vcc_lo, v35, s8
	v_add_co_ci_u32_e64 v109, null, 0, v36, vcc_lo
	global_load_dword v113, v[108:109], off
	v_add_co_u32 v108, vcc_lo, v37, s8
	v_add_co_ci_u32_e64 v109, null, 0, v38, vcc_lo
	global_load_ushort v114, v[108:109], off
	v_add_co_u32 v108, vcc_lo, v31, s8
	v_add_co_ci_u32_e64 v109, null, 0, v32, vcc_lo
	global_load_dword v115, v[108:109], off
	v_add_co_u32 v108, vcc_lo, v33, s8
	v_add_co_ci_u32_e64 v109, null, 0, v34, vcc_lo
	global_load_ushort v108, v[108:109], off
	buffer_store_dword v72, off, s[96:99], 0 offset:308 ; 4-byte Folded Spill
	buffer_store_dword v76, off, s[96:99], 0 offset:344 ; 4-byte Folded Spill
	;; [unrolled: 1-line block ×3, first 2 shown]
	v_mov_b32_e32 v76, v129
	v_mov_b32_e32 v129, v28
	;; [unrolled: 1-line block ×3, first 2 shown]
	buffer_store_dword v73, off, s[96:99], 0 offset:304 ; 4-byte Folded Spill
	v_mov_b32_e32 v73, v29
	v_mov_b32_e32 v29, v61
	buffer_store_dword v75, off, s[96:99], 0 offset:300 ; 4-byte Folded Spill
	v_mov_b32_e32 v75, v74
	v_mov_b32_e32 v74, v30
	;; [unrolled: 1-line block ×26, first 2 shown]
	s_clause 0x7
	buffer_load_dword v210, off, s[96:99], 0 offset:280
	buffer_load_dword v157, off, s[96:99], 0 offset:284
	;; [unrolled: 1-line block ×8, first 2 shown]
	v_mov_b32_e32 v214, v211
	s_clause 0x20
	buffer_load_dword v211, off, s[96:99], 0 offset:288
	buffer_load_dword v124, off, s[96:99], 0 offset:456
	;; [unrolled: 1-line block ×33, first 2 shown]
	s_waitcnt vmcnt(44)
	v_ashrrev_i32_e32 v109, v105, v113
	v_and_b32_e32 v109, 0xf0f0f0f, v109
	s_waitcnt vmcnt(43)
	v_mul_u32_u24_e32 v114, 0x10001, v114
	v_lshlrev_b16 v113, 8, v109
	v_and_b32_e32 v116, 0xf00, v109
	v_lshrrev_b32_e32 v109, 16, v109
	v_add_nc_u16 v113, 0xf800, v113
	v_or_b32_sdwa v113, v116, v113 dst_sel:DWORD dst_unused:UNUSED_PAD src0_sel:DWORD src1_sel:BYTE_1
	v_lshlrev_b16 v116, 8, v109
	v_and_b32_e32 v109, 0xf00, v109
	s_waitcnt vmcnt(41)
	v_mul_u32_u24_e32 v108, 0x10001, v108
	v_add_nc_u16 v113, 0xf800, v113
	v_add_nc_u16 v116, 0xf800, v116
	v_or_b32_sdwa v109, v109, v116 dst_sel:DWORD dst_unused:UNUSED_PAD src0_sel:DWORD src1_sel:BYTE_1
	v_lshrrev_b32_e32 v116, 8, v113
	v_cvt_f16_i16_sdwa v113, sext(v113) dst_sel:DWORD dst_unused:UNUSED_PAD src0_sel:BYTE_0
	v_add_nc_u16 v109, 0xf800, v109
	v_cvt_f16_i16_sdwa v116, sext(v116) dst_sel:DWORD dst_unused:UNUSED_PAD src0_sel:BYTE_0
	v_pack_b32_f16 v113, v113, v116
	v_lshrrev_b32_e32 v116, 8, v109
	v_cvt_f16_i16_sdwa v109, sext(v109) dst_sel:DWORD dst_unused:UNUSED_PAD src0_sel:BYTE_0
	v_pk_mul_f16 v113, v113, v114
	v_cvt_f16_i16_sdwa v116, sext(v116) dst_sel:DWORD dst_unused:UNUSED_PAD src0_sel:BYTE_0
	v_pk_fma_f16 v111, v113, v117, v111
	v_pack_b32_f16 v109, v109, v116
	v_pk_mul_f16 v109, v109, v114
	v_ashrrev_i32_e32 v114, v105, v115
	v_pk_fma_f16 v25, v109, v117, v25
	v_and_b32_e32 v114, 0xf0f0f0f, v114
	v_lshlrev_b16 v115, 8, v114
	v_and_b32_e32 v116, 0xf00, v114
	v_lshrrev_b32_e32 v114, 16, v114
	v_add_nc_u16 v115, 0xf800, v115
	v_or_b32_sdwa v115, v116, v115 dst_sel:DWORD dst_unused:UNUSED_PAD src0_sel:DWORD src1_sel:BYTE_1
	v_lshlrev_b16 v116, 8, v114
	v_and_b32_e32 v114, 0xf00, v114
	v_add_nc_u16 v115, 0xf800, v115
	v_add_nc_u16 v116, 0xf800, v116
	v_or_b32_sdwa v114, v114, v116 dst_sel:DWORD dst_unused:UNUSED_PAD src0_sel:DWORD src1_sel:BYTE_1
	v_lshrrev_b32_e32 v116, 8, v115
	v_cvt_f16_i16_sdwa v115, sext(v115) dst_sel:DWORD dst_unused:UNUSED_PAD src0_sel:BYTE_0
	v_add_nc_u16 v114, 0xf800, v114
	v_cvt_f16_i16_sdwa v116, sext(v116) dst_sel:DWORD dst_unused:UNUSED_PAD src0_sel:BYTE_0
	v_pack_b32_f16 v115, v115, v116
	v_lshrrev_b32_e32 v116, 8, v114
	v_cvt_f16_i16_sdwa v114, sext(v114) dst_sel:DWORD dst_unused:UNUSED_PAD src0_sel:BYTE_0
	v_pk_mul_f16 v115, v115, v108
	v_cvt_f16_i16_sdwa v116, sext(v116) dst_sel:DWORD dst_unused:UNUSED_PAD src0_sel:BYTE_0
	v_pk_fma_f16 v112, v115, v117, v112
	v_pack_b32_f16 v114, v114, v116
	v_pk_mul_f16 v108, v114, v108
	v_pk_fma_f16 v110, v108, v117, v110
	v_add_co_u32 v108, vcc_lo, v28, s8
	v_add_co_ci_u32_e64 v109, null, 0, v29, vcc_lo
	buffer_load_dword v117, off, s[96:99], 0 offset:432 ; 4-byte Folded Reload
	global_load_dword v113, v[108:109], off
	v_add_co_u32 v108, vcc_lo, v30, s8
	v_add_co_ci_u32_e64 v109, null, 0, v27, vcc_lo
	global_load_ushort v114, v[108:109], off
	v_add_co_u32 v108, vcc_lo, v171, s8
	v_add_co_ci_u32_e64 v109, null, 0, v65, vcc_lo
	v_mov_b32_e32 v171, v173
	buffer_load_dword v173, off, s[96:99], 0 offset:168 ; 4-byte Folded Reload
	global_load_dword v115, v[108:109], off
	v_add_co_u32 v108, vcc_lo, v26, s8
	v_add_co_ci_u32_e64 v109, null, 0, v69, vcc_lo
	global_load_ushort v108, v[108:109], off
	s_waitcnt vmcnt(4)
	v_ashrrev_i32_e32 v109, v105, v113
	v_and_b32_e32 v109, 0xf0f0f0f, v109
	s_waitcnt vmcnt(3)
	v_mul_u32_u24_e32 v114, 0x10001, v114
	v_lshlrev_b16 v113, 8, v109
	v_and_b32_e32 v116, 0xf00, v109
	v_lshrrev_b32_e32 v109, 16, v109
	v_add_nc_u16 v113, 0xf800, v113
	v_or_b32_sdwa v113, v116, v113 dst_sel:DWORD dst_unused:UNUSED_PAD src0_sel:DWORD src1_sel:BYTE_1
	v_lshlrev_b16 v116, 8, v109
	v_and_b32_e32 v109, 0xf00, v109
	s_waitcnt vmcnt(0)
	v_mul_u32_u24_e32 v108, 0x10001, v108
	v_add_nc_u16 v113, 0xf800, v113
	v_add_nc_u16 v116, 0xf800, v116
	v_or_b32_sdwa v109, v109, v116 dst_sel:DWORD dst_unused:UNUSED_PAD src0_sel:DWORD src1_sel:BYTE_1
	v_lshrrev_b32_e32 v116, 8, v113
	v_cvt_f16_i16_sdwa v113, sext(v113) dst_sel:DWORD dst_unused:UNUSED_PAD src0_sel:BYTE_0
	v_add_nc_u16 v109, 0xf800, v109
	v_cvt_f16_i16_sdwa v116, sext(v116) dst_sel:DWORD dst_unused:UNUSED_PAD src0_sel:BYTE_0
	v_pack_b32_f16 v113, v113, v116
	v_lshrrev_b32_e32 v116, 8, v109
	v_cvt_f16_i16_sdwa v109, sext(v109) dst_sel:DWORD dst_unused:UNUSED_PAD src0_sel:BYTE_0
	v_pk_mul_f16 v113, v113, v114
	v_cvt_f16_i16_sdwa v116, sext(v116) dst_sel:DWORD dst_unused:UNUSED_PAD src0_sel:BYTE_0
	v_pk_fma_f16 v111, v113, v118, v111
	v_pack_b32_f16 v109, v109, v116
	v_pk_mul_f16 v109, v109, v114
	v_ashrrev_i32_e32 v114, v105, v115
	v_pk_fma_f16 v25, v109, v118, v25
	v_and_b32_e32 v114, 0xf0f0f0f, v114
	v_lshlrev_b16 v115, 8, v114
	v_and_b32_e32 v116, 0xf00, v114
	v_lshrrev_b32_e32 v114, 16, v114
	v_add_nc_u16 v115, 0xf800, v115
	v_or_b32_sdwa v115, v116, v115 dst_sel:DWORD dst_unused:UNUSED_PAD src0_sel:DWORD src1_sel:BYTE_1
	v_lshlrev_b16 v116, 8, v114
	v_and_b32_e32 v114, 0xf00, v114
	v_add_nc_u16 v115, 0xf800, v115
	v_add_nc_u16 v116, 0xf800, v116
	v_or_b32_sdwa v114, v114, v116 dst_sel:DWORD dst_unused:UNUSED_PAD src0_sel:DWORD src1_sel:BYTE_1
	v_lshrrev_b32_e32 v116, 8, v115
	v_cvt_f16_i16_sdwa v115, sext(v115) dst_sel:DWORD dst_unused:UNUSED_PAD src0_sel:BYTE_0
	v_add_nc_u16 v114, 0xf800, v114
	v_cvt_f16_i16_sdwa v116, sext(v116) dst_sel:DWORD dst_unused:UNUSED_PAD src0_sel:BYTE_0
	v_pack_b32_f16 v115, v115, v116
	v_lshrrev_b32_e32 v116, 8, v114
	v_cvt_f16_i16_sdwa v114, sext(v114) dst_sel:DWORD dst_unused:UNUSED_PAD src0_sel:BYTE_0
	v_pk_mul_f16 v115, v115, v108
	v_cvt_f16_i16_sdwa v116, sext(v116) dst_sel:DWORD dst_unused:UNUSED_PAD src0_sel:BYTE_0
	v_pk_fma_f16 v112, v115, v118, v112
	v_pack_b32_f16 v114, v114, v116
	v_pk_mul_f16 v108, v114, v108
	v_pk_fma_f16 v110, v108, v118, v110
	v_add_co_u32 v108, vcc_lo, v61, s8
	v_add_co_ci_u32_e64 v109, null, 0, v172, vcc_lo
	buffer_load_dword v118, off, s[96:99], 0 offset:436 ; 4-byte Folded Reload
	global_load_dword v113, v[108:109], off
	v_add_co_u32 v108, vcc_lo, v67, s8
	v_add_co_ci_u32_e64 v109, null, 0, v171, vcc_lo
	global_load_ushort v114, v[108:109], off
	v_add_co_u32 v108, vcc_lo, v64, s8
	v_add_co_ci_u32_e64 v109, null, 0, v60, vcc_lo
	v_mov_b32_e32 v60, v64
	v_mov_b32_e32 v64, v62
	global_load_dword v115, v[108:109], off
	v_add_co_u32 v108, vcc_lo, v229, s8
	v_add_co_ci_u32_e64 v109, null, 0, v63, vcc_lo
	v_mov_b32_e32 v229, v193
	global_load_ushort v108, v[108:109], off
	s_waitcnt vmcnt(3)
	v_ashrrev_i32_e32 v109, v105, v113
	v_and_b32_e32 v109, 0xf0f0f0f, v109
	s_waitcnt vmcnt(2)
	v_mul_u32_u24_e32 v114, 0x10001, v114
	v_lshlrev_b16 v113, 8, v109
	v_and_b32_e32 v116, 0xf00, v109
	v_lshrrev_b32_e32 v109, 16, v109
	v_add_nc_u16 v113, 0xf800, v113
	v_or_b32_sdwa v113, v116, v113 dst_sel:DWORD dst_unused:UNUSED_PAD src0_sel:DWORD src1_sel:BYTE_1
	v_lshlrev_b16 v116, 8, v109
	v_and_b32_e32 v109, 0xf00, v109
	s_waitcnt vmcnt(0)
	v_mul_u32_u24_e32 v108, 0x10001, v108
	v_add_nc_u16 v113, 0xf800, v113
	v_add_nc_u16 v116, 0xf800, v116
	v_or_b32_sdwa v109, v109, v116 dst_sel:DWORD dst_unused:UNUSED_PAD src0_sel:DWORD src1_sel:BYTE_1
	v_lshrrev_b32_e32 v116, 8, v113
	v_cvt_f16_i16_sdwa v113, sext(v113) dst_sel:DWORD dst_unused:UNUSED_PAD src0_sel:BYTE_0
	v_add_nc_u16 v109, 0xf800, v109
	v_cvt_f16_i16_sdwa v116, sext(v116) dst_sel:DWORD dst_unused:UNUSED_PAD src0_sel:BYTE_0
	v_pack_b32_f16 v113, v113, v116
	v_lshrrev_b32_e32 v116, 8, v109
	v_cvt_f16_i16_sdwa v109, sext(v109) dst_sel:DWORD dst_unused:UNUSED_PAD src0_sel:BYTE_0
	v_pk_mul_f16 v113, v113, v114
	v_cvt_f16_i16_sdwa v116, sext(v116) dst_sel:DWORD dst_unused:UNUSED_PAD src0_sel:BYTE_0
	v_pk_fma_f16 v111, v113, v134, v111
	v_pack_b32_f16 v109, v109, v116
	v_pk_mul_f16 v109, v109, v114
	v_ashrrev_i32_e32 v114, v105, v115
	v_pk_fma_f16 v25, v109, v134, v25
	v_and_b32_e32 v114, 0xf0f0f0f, v114
	v_lshlrev_b16 v115, 8, v114
	v_and_b32_e32 v116, 0xf00, v114
	v_lshrrev_b32_e32 v114, 16, v114
	v_add_nc_u16 v115, 0xf800, v115
	v_or_b32_sdwa v115, v116, v115 dst_sel:DWORD dst_unused:UNUSED_PAD src0_sel:DWORD src1_sel:BYTE_1
	v_lshlrev_b16 v116, 8, v114
	v_and_b32_e32 v114, 0xf00, v114
	v_add_nc_u16 v115, 0xf800, v115
	v_add_nc_u16 v116, 0xf800, v116
	v_or_b32_sdwa v114, v114, v116 dst_sel:DWORD dst_unused:UNUSED_PAD src0_sel:DWORD src1_sel:BYTE_1
	v_lshrrev_b32_e32 v116, 8, v115
	v_cvt_f16_i16_sdwa v115, sext(v115) dst_sel:DWORD dst_unused:UNUSED_PAD src0_sel:BYTE_0
	v_add_nc_u16 v114, 0xf800, v114
	v_cvt_f16_i16_sdwa v116, sext(v116) dst_sel:DWORD dst_unused:UNUSED_PAD src0_sel:BYTE_0
	v_pack_b32_f16 v115, v115, v116
	v_lshrrev_b32_e32 v116, 8, v114
	v_cvt_f16_i16_sdwa v114, sext(v114) dst_sel:DWORD dst_unused:UNUSED_PAD src0_sel:BYTE_0
	v_pk_mul_f16 v115, v115, v108
	v_cvt_f16_i16_sdwa v116, sext(v116) dst_sel:DWORD dst_unused:UNUSED_PAD src0_sel:BYTE_0
	v_pk_fma_f16 v112, v115, v134, v112
	v_pack_b32_f16 v114, v114, v116
	v_pk_mul_f16 v108, v114, v108
	v_pk_fma_f16 v110, v108, v134, v110
	v_add_co_u32 v108, vcc_lo, v254, s8
	v_add_co_ci_u32_e64 v109, null, 0, v253, vcc_lo
	s_clause 0x1
	buffer_load_dword v134, off, s[96:99], 0 offset:492
	buffer_load_dword v131, off, s[96:99], 0 offset:480
	global_load_dword v113, v[108:109], off
	v_add_co_u32 v108, vcc_lo, v255, s8
	v_add_co_ci_u32_e64 v109, null, 0, v62, vcc_lo
	v_mov_b32_e32 v62, v233
	global_load_ushort v114, v[108:109], off
	v_add_co_u32 v108, vcc_lo, v250, s8
	v_add_co_ci_u32_e64 v109, null, 0, v249, vcc_lo
	global_load_dword v115, v[108:109], off
	v_add_co_u32 v108, vcc_lo, v251, s8
	v_add_co_ci_u32_e64 v109, null, 0, v252, vcc_lo
	global_load_ushort v108, v[108:109], off
	s_waitcnt vmcnt(3)
	v_ashrrev_i32_e32 v109, v105, v113
	v_and_b32_e32 v109, 0xf0f0f0f, v109
	s_waitcnt vmcnt(2)
	v_mul_u32_u24_e32 v114, 0x10001, v114
	v_lshlrev_b16 v113, 8, v109
	v_and_b32_e32 v116, 0xf00, v109
	v_lshrrev_b32_e32 v109, 16, v109
	v_add_nc_u16 v113, 0xf800, v113
	v_or_b32_sdwa v113, v116, v113 dst_sel:DWORD dst_unused:UNUSED_PAD src0_sel:DWORD src1_sel:BYTE_1
	v_lshlrev_b16 v116, 8, v109
	v_and_b32_e32 v109, 0xf00, v109
	s_waitcnt vmcnt(0)
	v_mul_u32_u24_e32 v108, 0x10001, v108
	v_add_nc_u16 v113, 0xf800, v113
	v_add_nc_u16 v116, 0xf800, v116
	v_or_b32_sdwa v109, v109, v116 dst_sel:DWORD dst_unused:UNUSED_PAD src0_sel:DWORD src1_sel:BYTE_1
	v_lshrrev_b32_e32 v116, 8, v113
	v_cvt_f16_i16_sdwa v113, sext(v113) dst_sel:DWORD dst_unused:UNUSED_PAD src0_sel:BYTE_0
	v_add_nc_u16 v109, 0xf800, v109
	v_cvt_f16_i16_sdwa v116, sext(v116) dst_sel:DWORD dst_unused:UNUSED_PAD src0_sel:BYTE_0
	v_pack_b32_f16 v113, v113, v116
	v_lshrrev_b32_e32 v116, 8, v109
	v_cvt_f16_i16_sdwa v109, sext(v109) dst_sel:DWORD dst_unused:UNUSED_PAD src0_sel:BYTE_0
	v_pk_mul_f16 v113, v113, v114
	v_cvt_f16_i16_sdwa v116, sext(v116) dst_sel:DWORD dst_unused:UNUSED_PAD src0_sel:BYTE_0
	v_pk_fma_f16 v111, v113, v133, v111
	v_pack_b32_f16 v109, v109, v116
	v_pk_mul_f16 v109, v109, v114
	v_ashrrev_i32_e32 v114, v105, v115
	v_pk_fma_f16 v25, v109, v133, v25
	v_and_b32_e32 v114, 0xf0f0f0f, v114
	v_lshlrev_b16 v115, 8, v114
	v_and_b32_e32 v116, 0xf00, v114
	v_lshrrev_b32_e32 v114, 16, v114
	v_add_nc_u16 v115, 0xf800, v115
	v_or_b32_sdwa v115, v116, v115 dst_sel:DWORD dst_unused:UNUSED_PAD src0_sel:DWORD src1_sel:BYTE_1
	v_lshlrev_b16 v116, 8, v114
	v_and_b32_e32 v114, 0xf00, v114
	v_add_nc_u16 v115, 0xf800, v115
	v_add_nc_u16 v116, 0xf800, v116
	v_or_b32_sdwa v114, v114, v116 dst_sel:DWORD dst_unused:UNUSED_PAD src0_sel:DWORD src1_sel:BYTE_1
	v_lshrrev_b32_e32 v116, 8, v115
	v_cvt_f16_i16_sdwa v115, sext(v115) dst_sel:DWORD dst_unused:UNUSED_PAD src0_sel:BYTE_0
	v_add_nc_u16 v114, 0xf800, v114
	v_cvt_f16_i16_sdwa v116, sext(v116) dst_sel:DWORD dst_unused:UNUSED_PAD src0_sel:BYTE_0
	v_pack_b32_f16 v115, v115, v116
	v_lshrrev_b32_e32 v116, 8, v114
	v_cvt_f16_i16_sdwa v114, sext(v114) dst_sel:DWORD dst_unused:UNUSED_PAD src0_sel:BYTE_0
	v_pk_mul_f16 v115, v115, v108
	v_cvt_f16_i16_sdwa v116, sext(v116) dst_sel:DWORD dst_unused:UNUSED_PAD src0_sel:BYTE_0
	v_pk_fma_f16 v112, v115, v133, v112
	v_pack_b32_f16 v114, v114, v116
	v_pk_mul_f16 v108, v114, v108
	v_pk_fma_f16 v110, v108, v133, v110
	v_add_co_u32 v108, vcc_lo, v246, s8
	v_add_co_ci_u32_e64 v109, null, 0, v245, vcc_lo
	buffer_load_dword v133, off, s[96:99], 0 offset:488 ; 4-byte Folded Reload
	global_load_dword v113, v[108:109], off
	v_add_co_u32 v108, vcc_lo, v247, s8
	v_add_co_ci_u32_e64 v109, null, 0, v248, vcc_lo
	global_load_ushort v114, v[108:109], off
	v_add_co_u32 v108, vcc_lo, v242, s8
	v_add_co_ci_u32_e64 v109, null, 0, v241, vcc_lo
	global_load_dword v115, v[108:109], off
	v_add_co_u32 v108, vcc_lo, v243, s8
	v_add_co_ci_u32_e64 v109, null, 0, v244, vcc_lo
	global_load_ushort v108, v[108:109], off
	s_waitcnt vmcnt(3)
	v_ashrrev_i32_e32 v109, v105, v113
	v_and_b32_e32 v109, 0xf0f0f0f, v109
	s_waitcnt vmcnt(2)
	v_mul_u32_u24_e32 v114, 0x10001, v114
	v_lshlrev_b16 v113, 8, v109
	v_and_b32_e32 v116, 0xf00, v109
	v_lshrrev_b32_e32 v109, 16, v109
	v_add_nc_u16 v113, 0xf800, v113
	v_or_b32_sdwa v113, v116, v113 dst_sel:DWORD dst_unused:UNUSED_PAD src0_sel:DWORD src1_sel:BYTE_1
	v_lshlrev_b16 v116, 8, v109
	v_and_b32_e32 v109, 0xf00, v109
	s_waitcnt vmcnt(0)
	v_mul_u32_u24_e32 v108, 0x10001, v108
	v_add_nc_u16 v113, 0xf800, v113
	v_add_nc_u16 v116, 0xf800, v116
	v_or_b32_sdwa v109, v109, v116 dst_sel:DWORD dst_unused:UNUSED_PAD src0_sel:DWORD src1_sel:BYTE_1
	v_lshrrev_b32_e32 v116, 8, v113
	v_cvt_f16_i16_sdwa v113, sext(v113) dst_sel:DWORD dst_unused:UNUSED_PAD src0_sel:BYTE_0
	v_add_nc_u16 v109, 0xf800, v109
	v_cvt_f16_i16_sdwa v116, sext(v116) dst_sel:DWORD dst_unused:UNUSED_PAD src0_sel:BYTE_0
	v_pack_b32_f16 v113, v113, v116
	v_lshrrev_b32_e32 v116, 8, v109
	v_cvt_f16_i16_sdwa v109, sext(v109) dst_sel:DWORD dst_unused:UNUSED_PAD src0_sel:BYTE_0
	v_pk_mul_f16 v113, v113, v114
	v_cvt_f16_i16_sdwa v116, sext(v116) dst_sel:DWORD dst_unused:UNUSED_PAD src0_sel:BYTE_0
	v_pk_fma_f16 v111, v113, v132, v111
	v_pack_b32_f16 v109, v109, v116
	v_pk_mul_f16 v109, v109, v114
	v_ashrrev_i32_e32 v114, v105, v115
	v_pk_fma_f16 v25, v109, v132, v25
	v_and_b32_e32 v114, 0xf0f0f0f, v114
	v_lshlrev_b16 v115, 8, v114
	v_and_b32_e32 v116, 0xf00, v114
	v_lshrrev_b32_e32 v114, 16, v114
	v_add_nc_u16 v115, 0xf800, v115
	v_or_b32_sdwa v115, v116, v115 dst_sel:DWORD dst_unused:UNUSED_PAD src0_sel:DWORD src1_sel:BYTE_1
	v_lshlrev_b16 v116, 8, v114
	v_and_b32_e32 v114, 0xf00, v114
	v_add_nc_u16 v115, 0xf800, v115
	v_add_nc_u16 v116, 0xf800, v116
	v_or_b32_sdwa v114, v114, v116 dst_sel:DWORD dst_unused:UNUSED_PAD src0_sel:DWORD src1_sel:BYTE_1
	v_lshrrev_b32_e32 v116, 8, v115
	v_cvt_f16_i16_sdwa v115, sext(v115) dst_sel:DWORD dst_unused:UNUSED_PAD src0_sel:BYTE_0
	v_add_nc_u16 v114, 0xf800, v114
	v_cvt_f16_i16_sdwa v116, sext(v116) dst_sel:DWORD dst_unused:UNUSED_PAD src0_sel:BYTE_0
	v_pack_b32_f16 v115, v115, v116
	v_lshrrev_b32_e32 v116, 8, v114
	v_cvt_f16_i16_sdwa v114, sext(v114) dst_sel:DWORD dst_unused:UNUSED_PAD src0_sel:BYTE_0
	v_pk_mul_f16 v115, v115, v108
	v_cvt_f16_i16_sdwa v116, sext(v116) dst_sel:DWORD dst_unused:UNUSED_PAD src0_sel:BYTE_0
	v_pk_fma_f16 v112, v115, v132, v112
	v_pack_b32_f16 v114, v114, v116
	v_pk_mul_f16 v108, v114, v108
	v_pk_fma_f16 v110, v108, v132, v110
	v_add_co_u32 v108, vcc_lo, v238, s8
	v_add_co_ci_u32_e64 v109, null, 0, v237, vcc_lo
	s_clause 0x1
	buffer_load_dword v132, off, s[96:99], 0 offset:484
	buffer_load_dword v126, off, s[96:99], 0 offset:464
	global_load_dword v113, v[108:109], off
	v_add_co_u32 v108, vcc_lo, v239, s8
	v_add_co_ci_u32_e64 v109, null, 0, v240, vcc_lo
	global_load_ushort v114, v[108:109], off
	v_add_co_u32 v108, vcc_lo, v233, s8
	v_add_co_ci_u32_e64 v109, null, 0, v235, vcc_lo
	v_mov_b32_e32 v233, v226
	global_load_dword v115, v[108:109], off
	v_add_co_u32 v108, vcc_lo, v234, s8
	v_add_co_ci_u32_e64 v109, null, 0, v236, vcc_lo
	global_load_ushort v108, v[108:109], off
	s_waitcnt vmcnt(3)
	v_ashrrev_i32_e32 v109, v105, v113
	v_and_b32_e32 v109, 0xf0f0f0f, v109
	s_waitcnt vmcnt(2)
	v_mul_u32_u24_e32 v114, 0x10001, v114
	v_lshlrev_b16 v113, 8, v109
	v_and_b32_e32 v116, 0xf00, v109
	v_lshrrev_b32_e32 v109, 16, v109
	v_add_nc_u16 v113, 0xf800, v113
	v_or_b32_sdwa v113, v116, v113 dst_sel:DWORD dst_unused:UNUSED_PAD src0_sel:DWORD src1_sel:BYTE_1
	v_lshlrev_b16 v116, 8, v109
	v_and_b32_e32 v109, 0xf00, v109
	s_waitcnt vmcnt(0)
	v_mul_u32_u24_e32 v108, 0x10001, v108
	v_add_nc_u16 v113, 0xf800, v113
	v_add_nc_u16 v116, 0xf800, v116
	v_or_b32_sdwa v109, v109, v116 dst_sel:DWORD dst_unused:UNUSED_PAD src0_sel:DWORD src1_sel:BYTE_1
	v_lshrrev_b32_e32 v116, 8, v113
	v_cvt_f16_i16_sdwa v113, sext(v113) dst_sel:DWORD dst_unused:UNUSED_PAD src0_sel:BYTE_0
	v_add_nc_u16 v109, 0xf800, v109
	v_cvt_f16_i16_sdwa v116, sext(v116) dst_sel:DWORD dst_unused:UNUSED_PAD src0_sel:BYTE_0
	v_pack_b32_f16 v113, v113, v116
	v_lshrrev_b32_e32 v116, 8, v109
	v_cvt_f16_i16_sdwa v109, sext(v109) dst_sel:DWORD dst_unused:UNUSED_PAD src0_sel:BYTE_0
	v_pk_mul_f16 v113, v113, v114
	v_cvt_f16_i16_sdwa v116, sext(v116) dst_sel:DWORD dst_unused:UNUSED_PAD src0_sel:BYTE_0
	v_pk_fma_f16 v111, v113, v130, v111
	v_pack_b32_f16 v109, v109, v116
	v_pk_mul_f16 v109, v109, v114
	v_ashrrev_i32_e32 v114, v105, v115
	v_pk_fma_f16 v25, v109, v130, v25
	v_and_b32_e32 v114, 0xf0f0f0f, v114
	v_lshlrev_b16 v115, 8, v114
	v_and_b32_e32 v116, 0xf00, v114
	v_lshrrev_b32_e32 v114, 16, v114
	v_add_nc_u16 v115, 0xf800, v115
	v_or_b32_sdwa v115, v116, v115 dst_sel:DWORD dst_unused:UNUSED_PAD src0_sel:DWORD src1_sel:BYTE_1
	v_lshlrev_b16 v116, 8, v114
	v_and_b32_e32 v114, 0xf00, v114
	v_add_nc_u16 v115, 0xf800, v115
	v_add_nc_u16 v116, 0xf800, v116
	v_or_b32_sdwa v114, v114, v116 dst_sel:DWORD dst_unused:UNUSED_PAD src0_sel:DWORD src1_sel:BYTE_1
	v_lshrrev_b32_e32 v116, 8, v115
	v_cvt_f16_i16_sdwa v115, sext(v115) dst_sel:DWORD dst_unused:UNUSED_PAD src0_sel:BYTE_0
	v_add_nc_u16 v114, 0xf800, v114
	v_cvt_f16_i16_sdwa v116, sext(v116) dst_sel:DWORD dst_unused:UNUSED_PAD src0_sel:BYTE_0
	v_pack_b32_f16 v115, v115, v116
	v_lshrrev_b32_e32 v116, 8, v114
	v_cvt_f16_i16_sdwa v114, sext(v114) dst_sel:DWORD dst_unused:UNUSED_PAD src0_sel:BYTE_0
	v_pk_mul_f16 v115, v115, v108
	v_cvt_f16_i16_sdwa v116, sext(v116) dst_sel:DWORD dst_unused:UNUSED_PAD src0_sel:BYTE_0
	v_pk_fma_f16 v112, v115, v130, v112
	v_pack_b32_f16 v114, v114, v116
	v_pk_mul_f16 v108, v114, v108
	v_pk_fma_f16 v110, v108, v130, v110
	v_add_co_u32 v108, vcc_lo, v230, s8
	v_add_co_ci_u32_e64 v109, null, 0, v227, vcc_lo
	buffer_load_dword v130, off, s[96:99], 0 offset:476 ; 4-byte Folded Reload
	global_load_dword v113, v[108:109], off
	v_add_co_u32 v108, vcc_lo, v231, s8
	v_add_co_ci_u32_e64 v109, null, 0, v232, vcc_lo
	global_load_ushort v114, v[108:109], off
	v_add_co_u32 v108, vcc_lo, v225, s8
	v_add_co_ci_u32_e64 v109, null, 0, v226, vcc_lo
	v_mov_b32_e32 v226, v225
	v_mov_b32_e32 v225, v224
	global_load_dword v115, v[108:109], off
	v_add_co_u32 v108, vcc_lo, v228, s8
	v_add_co_ci_u32_e64 v109, null, 0, v217, vcc_lo
	global_load_ushort v108, v[108:109], off
	s_waitcnt vmcnt(3)
	v_ashrrev_i32_e32 v109, v105, v113
	v_and_b32_e32 v109, 0xf0f0f0f, v109
	s_waitcnt vmcnt(2)
	v_mul_u32_u24_e32 v114, 0x10001, v114
	v_lshlrev_b16 v113, 8, v109
	v_and_b32_e32 v116, 0xf00, v109
	v_lshrrev_b32_e32 v109, 16, v109
	v_add_nc_u16 v113, 0xf800, v113
	v_or_b32_sdwa v113, v116, v113 dst_sel:DWORD dst_unused:UNUSED_PAD src0_sel:DWORD src1_sel:BYTE_1
	v_lshlrev_b16 v116, 8, v109
	v_and_b32_e32 v109, 0xf00, v109
	s_waitcnt vmcnt(0)
	v_mul_u32_u24_e32 v108, 0x10001, v108
	v_add_nc_u16 v113, 0xf800, v113
	v_add_nc_u16 v116, 0xf800, v116
	v_or_b32_sdwa v109, v109, v116 dst_sel:DWORD dst_unused:UNUSED_PAD src0_sel:DWORD src1_sel:BYTE_1
	v_lshrrev_b32_e32 v116, 8, v113
	v_cvt_f16_i16_sdwa v113, sext(v113) dst_sel:DWORD dst_unused:UNUSED_PAD src0_sel:BYTE_0
	v_add_nc_u16 v109, 0xf800, v109
	v_cvt_f16_i16_sdwa v116, sext(v116) dst_sel:DWORD dst_unused:UNUSED_PAD src0_sel:BYTE_0
	v_pack_b32_f16 v113, v113, v116
	v_lshrrev_b32_e32 v116, 8, v109
	v_cvt_f16_i16_sdwa v109, sext(v109) dst_sel:DWORD dst_unused:UNUSED_PAD src0_sel:BYTE_0
	v_pk_mul_f16 v113, v113, v114
	v_cvt_f16_i16_sdwa v116, sext(v116) dst_sel:DWORD dst_unused:UNUSED_PAD src0_sel:BYTE_0
	v_pk_fma_f16 v111, v113, v127, v111
	v_pack_b32_f16 v109, v109, v116
	v_pk_mul_f16 v109, v109, v114
	v_ashrrev_i32_e32 v114, v105, v115
	v_pk_fma_f16 v25, v109, v127, v25
	v_and_b32_e32 v114, 0xf0f0f0f, v114
	v_lshlrev_b16 v115, 8, v114
	v_and_b32_e32 v116, 0xf00, v114
	v_lshrrev_b32_e32 v114, 16, v114
	v_add_nc_u16 v115, 0xf800, v115
	v_or_b32_sdwa v115, v116, v115 dst_sel:DWORD dst_unused:UNUSED_PAD src0_sel:DWORD src1_sel:BYTE_1
	v_lshlrev_b16 v116, 8, v114
	v_and_b32_e32 v114, 0xf00, v114
	v_add_nc_u16 v115, 0xf800, v115
	v_add_nc_u16 v116, 0xf800, v116
	v_or_b32_sdwa v114, v114, v116 dst_sel:DWORD dst_unused:UNUSED_PAD src0_sel:DWORD src1_sel:BYTE_1
	v_lshrrev_b32_e32 v116, 8, v115
	v_cvt_f16_i16_sdwa v115, sext(v115) dst_sel:DWORD dst_unused:UNUSED_PAD src0_sel:BYTE_0
	v_add_nc_u16 v114, 0xf800, v114
	v_cvt_f16_i16_sdwa v116, sext(v116) dst_sel:DWORD dst_unused:UNUSED_PAD src0_sel:BYTE_0
	v_pack_b32_f16 v115, v115, v116
	v_lshrrev_b32_e32 v116, 8, v114
	v_cvt_f16_i16_sdwa v114, sext(v114) dst_sel:DWORD dst_unused:UNUSED_PAD src0_sel:BYTE_0
	v_pk_mul_f16 v115, v115, v108
	v_cvt_f16_i16_sdwa v116, sext(v116) dst_sel:DWORD dst_unused:UNUSED_PAD src0_sel:BYTE_0
	v_pk_fma_f16 v112, v115, v127, v112
	v_pack_b32_f16 v114, v114, v116
	v_pk_mul_f16 v108, v114, v108
	v_pk_fma_f16 v110, v108, v127, v110
	v_add_co_u32 v108, vcc_lo, v222, s8
	v_add_co_ci_u32_e64 v109, null, 0, v221, vcc_lo
	s_clause 0x1
	buffer_load_dword v127, off, s[96:99], 0 offset:468
	buffer_load_dword v120, off, s[96:99], 0 offset:444
	global_load_dword v113, v[108:109], off
	v_add_co_u32 v108, vcc_lo, v223, s8
	v_add_co_ci_u32_e64 v109, null, 0, v224, vcc_lo
	v_mov_b32_e32 v224, v167
	global_load_ushort v114, v[108:109], off
	v_add_co_u32 v108, vcc_lo, v218, s8
	v_add_co_ci_u32_e64 v109, null, 0, v216, vcc_lo
	global_load_dword v115, v[108:109], off
	v_add_co_u32 v108, vcc_lo, v219, s8
	v_add_co_ci_u32_e64 v109, null, 0, v220, vcc_lo
	global_load_ushort v108, v[108:109], off
	s_waitcnt vmcnt(3)
	v_ashrrev_i32_e32 v109, v105, v113
	v_and_b32_e32 v109, 0xf0f0f0f, v109
	s_waitcnt vmcnt(2)
	v_mul_u32_u24_e32 v114, 0x10001, v114
	v_lshlrev_b16 v113, 8, v109
	v_and_b32_e32 v116, 0xf00, v109
	v_lshrrev_b32_e32 v109, 16, v109
	v_add_nc_u16 v113, 0xf800, v113
	v_or_b32_sdwa v113, v116, v113 dst_sel:DWORD dst_unused:UNUSED_PAD src0_sel:DWORD src1_sel:BYTE_1
	v_lshlrev_b16 v116, 8, v109
	v_and_b32_e32 v109, 0xf00, v109
	s_waitcnt vmcnt(0)
	v_mul_u32_u24_e32 v108, 0x10001, v108
	v_add_nc_u16 v113, 0xf800, v113
	v_add_nc_u16 v116, 0xf800, v116
	v_or_b32_sdwa v109, v109, v116 dst_sel:DWORD dst_unused:UNUSED_PAD src0_sel:DWORD src1_sel:BYTE_1
	v_lshrrev_b32_e32 v116, 8, v113
	v_cvt_f16_i16_sdwa v113, sext(v113) dst_sel:DWORD dst_unused:UNUSED_PAD src0_sel:BYTE_0
	v_add_nc_u16 v109, 0xf800, v109
	v_cvt_f16_i16_sdwa v116, sext(v116) dst_sel:DWORD dst_unused:UNUSED_PAD src0_sel:BYTE_0
	v_pack_b32_f16 v113, v113, v116
	v_lshrrev_b32_e32 v116, 8, v109
	v_cvt_f16_i16_sdwa v109, sext(v109) dst_sel:DWORD dst_unused:UNUSED_PAD src0_sel:BYTE_0
	v_pk_mul_f16 v113, v113, v114
	v_cvt_f16_i16_sdwa v116, sext(v116) dst_sel:DWORD dst_unused:UNUSED_PAD src0_sel:BYTE_0
	v_pk_fma_f16 v111, v113, v125, v111
	v_pack_b32_f16 v109, v109, v116
	v_pk_mul_f16 v109, v109, v114
	v_ashrrev_i32_e32 v114, v105, v115
	v_pk_fma_f16 v25, v109, v125, v25
	v_and_b32_e32 v114, 0xf0f0f0f, v114
	v_lshlrev_b16 v115, 8, v114
	v_and_b32_e32 v116, 0xf00, v114
	v_lshrrev_b32_e32 v114, 16, v114
	v_add_nc_u16 v115, 0xf800, v115
	v_or_b32_sdwa v115, v116, v115 dst_sel:DWORD dst_unused:UNUSED_PAD src0_sel:DWORD src1_sel:BYTE_1
	v_lshlrev_b16 v116, 8, v114
	v_and_b32_e32 v114, 0xf00, v114
	v_add_nc_u16 v115, 0xf800, v115
	v_add_nc_u16 v116, 0xf800, v116
	v_or_b32_sdwa v114, v114, v116 dst_sel:DWORD dst_unused:UNUSED_PAD src0_sel:DWORD src1_sel:BYTE_1
	v_lshrrev_b32_e32 v116, 8, v115
	v_cvt_f16_i16_sdwa v115, sext(v115) dst_sel:DWORD dst_unused:UNUSED_PAD src0_sel:BYTE_0
	v_add_nc_u16 v114, 0xf800, v114
	v_cvt_f16_i16_sdwa v116, sext(v116) dst_sel:DWORD dst_unused:UNUSED_PAD src0_sel:BYTE_0
	v_pack_b32_f16 v115, v115, v116
	v_lshrrev_b32_e32 v116, 8, v114
	v_cvt_f16_i16_sdwa v114, sext(v114) dst_sel:DWORD dst_unused:UNUSED_PAD src0_sel:BYTE_0
	v_pk_mul_f16 v115, v115, v108
	v_cvt_f16_i16_sdwa v116, sext(v116) dst_sel:DWORD dst_unused:UNUSED_PAD src0_sel:BYTE_0
	v_pk_fma_f16 v112, v115, v125, v112
	v_pack_b32_f16 v114, v114, v116
	v_pk_mul_f16 v108, v114, v108
	v_pk_fma_f16 v110, v108, v125, v110
	v_add_co_u32 v108, vcc_lo, v214, s8
	v_add_co_ci_u32_e64 v109, null, 0, v213, vcc_lo
	buffer_load_dword v125, off, s[96:99], 0 offset:460 ; 4-byte Folded Reload
	global_load_dword v113, v[108:109], off
	v_add_co_u32 v108, vcc_lo, v215, s8
	v_add_co_ci_u32_e64 v109, null, 0, v209, vcc_lo
	global_load_ushort v114, v[108:109], off
	v_add_co_u32 v108, vcc_lo, v210, s8
	v_add_co_ci_u32_e64 v109, null, 0, v157, vcc_lo
	global_load_dword v115, v[108:109], off
	v_add_co_u32 v108, vcc_lo, v211, s8
	v_add_co_ci_u32_e64 v109, null, 0, v212, vcc_lo
	global_load_ushort v108, v[108:109], off
	s_waitcnt vmcnt(3)
	v_ashrrev_i32_e32 v109, v105, v113
	v_and_b32_e32 v109, 0xf0f0f0f, v109
	s_waitcnt vmcnt(2)
	v_mul_u32_u24_e32 v114, 0x10001, v114
	v_lshlrev_b16 v113, 8, v109
	v_and_b32_e32 v116, 0xf00, v109
	v_lshrrev_b32_e32 v109, 16, v109
	v_add_nc_u16 v113, 0xf800, v113
	v_or_b32_sdwa v113, v116, v113 dst_sel:DWORD dst_unused:UNUSED_PAD src0_sel:DWORD src1_sel:BYTE_1
	v_lshlrev_b16 v116, 8, v109
	v_and_b32_e32 v109, 0xf00, v109
	s_waitcnt vmcnt(0)
	v_mul_u32_u24_e32 v108, 0x10001, v108
	v_add_nc_u16 v113, 0xf800, v113
	v_add_nc_u16 v116, 0xf800, v116
	v_or_b32_sdwa v109, v109, v116 dst_sel:DWORD dst_unused:UNUSED_PAD src0_sel:DWORD src1_sel:BYTE_1
	v_lshrrev_b32_e32 v116, 8, v113
	v_cvt_f16_i16_sdwa v113, sext(v113) dst_sel:DWORD dst_unused:UNUSED_PAD src0_sel:BYTE_0
	v_add_nc_u16 v109, 0xf800, v109
	v_cvt_f16_i16_sdwa v116, sext(v116) dst_sel:DWORD dst_unused:UNUSED_PAD src0_sel:BYTE_0
	v_pack_b32_f16 v113, v113, v116
	v_lshrrev_b32_e32 v116, 8, v109
	v_cvt_f16_i16_sdwa v109, sext(v109) dst_sel:DWORD dst_unused:UNUSED_PAD src0_sel:BYTE_0
	v_pk_mul_f16 v113, v113, v114
	v_cvt_f16_i16_sdwa v116, sext(v116) dst_sel:DWORD dst_unused:UNUSED_PAD src0_sel:BYTE_0
	v_pk_fma_f16 v111, v113, v122, v111
	v_pack_b32_f16 v109, v109, v116
	v_pk_mul_f16 v109, v109, v114
	v_ashrrev_i32_e32 v114, v105, v115
	v_pk_fma_f16 v25, v109, v122, v25
	v_and_b32_e32 v114, 0xf0f0f0f, v114
	v_lshlrev_b16 v115, 8, v114
	v_and_b32_e32 v116, 0xf00, v114
	v_lshrrev_b32_e32 v114, 16, v114
	v_add_nc_u16 v115, 0xf800, v115
	v_or_b32_sdwa v115, v116, v115 dst_sel:DWORD dst_unused:UNUSED_PAD src0_sel:DWORD src1_sel:BYTE_1
	v_lshlrev_b16 v116, 8, v114
	v_and_b32_e32 v114, 0xf00, v114
	v_add_nc_u16 v115, 0xf800, v115
	v_add_nc_u16 v116, 0xf800, v116
	v_or_b32_sdwa v114, v114, v116 dst_sel:DWORD dst_unused:UNUSED_PAD src0_sel:DWORD src1_sel:BYTE_1
	v_lshrrev_b32_e32 v116, 8, v115
	v_cvt_f16_i16_sdwa v115, sext(v115) dst_sel:DWORD dst_unused:UNUSED_PAD src0_sel:BYTE_0
	v_add_nc_u16 v114, 0xf800, v114
	v_cvt_f16_i16_sdwa v116, sext(v116) dst_sel:DWORD dst_unused:UNUSED_PAD src0_sel:BYTE_0
	v_pack_b32_f16 v115, v115, v116
	v_lshrrev_b32_e32 v116, 8, v114
	v_cvt_f16_i16_sdwa v114, sext(v114) dst_sel:DWORD dst_unused:UNUSED_PAD src0_sel:BYTE_0
	v_pk_mul_f16 v115, v115, v108
	v_cvt_f16_i16_sdwa v116, sext(v116) dst_sel:DWORD dst_unused:UNUSED_PAD src0_sel:BYTE_0
	v_pk_fma_f16 v112, v115, v122, v112
	v_pack_b32_f16 v114, v114, v116
	v_pk_mul_f16 v108, v114, v108
	v_pk_fma_f16 v110, v108, v122, v110
	v_add_co_u32 v108, vcc_lo, v206, s8
	v_add_co_ci_u32_e64 v109, null, 0, v155, vcc_lo
	buffer_load_dword v122, off, s[96:99], 0 offset:452 ; 4-byte Folded Reload
	global_load_dword v113, v[108:109], off
	v_add_co_u32 v108, vcc_lo, v207, s8
	v_add_co_ci_u32_e64 v109, null, 0, v156, vcc_lo
	global_load_ushort v114, v[108:109], off
	v_add_co_u32 v108, vcc_lo, v202, s8
	v_add_co_ci_u32_e64 v109, null, 0, v153, vcc_lo
	global_load_dword v115, v[108:109], off
	v_add_co_u32 v108, vcc_lo, v203, s8
	v_add_co_ci_u32_e64 v109, null, 0, v154, vcc_lo
	global_load_ushort v108, v[108:109], off
	s_waitcnt vmcnt(3)
	v_ashrrev_i32_e32 v109, v105, v113
	v_and_b32_e32 v109, 0xf0f0f0f, v109
	s_waitcnt vmcnt(2)
	v_mul_u32_u24_e32 v114, 0x10001, v114
	v_lshlrev_b16 v113, 8, v109
	v_and_b32_e32 v116, 0xf00, v109
	v_lshrrev_b32_e32 v109, 16, v109
	v_add_nc_u16 v113, 0xf800, v113
	v_or_b32_sdwa v113, v116, v113 dst_sel:DWORD dst_unused:UNUSED_PAD src0_sel:DWORD src1_sel:BYTE_1
	v_lshlrev_b16 v116, 8, v109
	v_and_b32_e32 v109, 0xf00, v109
	s_waitcnt vmcnt(0)
	v_mul_u32_u24_e32 v108, 0x10001, v108
	v_add_nc_u16 v113, 0xf800, v113
	v_add_nc_u16 v116, 0xf800, v116
	v_or_b32_sdwa v109, v109, v116 dst_sel:DWORD dst_unused:UNUSED_PAD src0_sel:DWORD src1_sel:BYTE_1
	v_lshrrev_b32_e32 v116, 8, v113
	v_cvt_f16_i16_sdwa v113, sext(v113) dst_sel:DWORD dst_unused:UNUSED_PAD src0_sel:BYTE_0
	v_add_nc_u16 v109, 0xf800, v109
	v_cvt_f16_i16_sdwa v116, sext(v116) dst_sel:DWORD dst_unused:UNUSED_PAD src0_sel:BYTE_0
	v_pack_b32_f16 v113, v113, v116
	v_lshrrev_b32_e32 v116, 8, v109
	v_cvt_f16_i16_sdwa v109, sext(v109) dst_sel:DWORD dst_unused:UNUSED_PAD src0_sel:BYTE_0
	v_pk_mul_f16 v113, v113, v114
	v_cvt_f16_i16_sdwa v116, sext(v116) dst_sel:DWORD dst_unused:UNUSED_PAD src0_sel:BYTE_0
	v_pk_fma_f16 v111, v113, v18, v111
	v_pack_b32_f16 v109, v109, v116
	v_pk_mul_f16 v109, v109, v114
	v_ashrrev_i32_e32 v114, v105, v115
	v_pk_fma_f16 v25, v109, v18, v25
	v_and_b32_e32 v114, 0xf0f0f0f, v114
	v_lshlrev_b16 v115, 8, v114
	v_and_b32_e32 v116, 0xf00, v114
	v_lshrrev_b32_e32 v114, 16, v114
	v_add_nc_u16 v115, 0xf800, v115
	v_or_b32_sdwa v115, v116, v115 dst_sel:DWORD dst_unused:UNUSED_PAD src0_sel:DWORD src1_sel:BYTE_1
	v_lshlrev_b16 v116, 8, v114
	v_and_b32_e32 v114, 0xf00, v114
	v_add_nc_u16 v115, 0xf800, v115
	v_add_nc_u16 v116, 0xf800, v116
	v_or_b32_sdwa v114, v114, v116 dst_sel:DWORD dst_unused:UNUSED_PAD src0_sel:DWORD src1_sel:BYTE_1
	v_lshrrev_b32_e32 v116, 8, v115
	v_cvt_f16_i16_sdwa v115, sext(v115) dst_sel:DWORD dst_unused:UNUSED_PAD src0_sel:BYTE_0
	v_add_nc_u16 v114, 0xf800, v114
	v_cvt_f16_i16_sdwa v116, sext(v116) dst_sel:DWORD dst_unused:UNUSED_PAD src0_sel:BYTE_0
	v_pack_b32_f16 v115, v115, v116
	v_lshrrev_b32_e32 v116, 8, v114
	v_cvt_f16_i16_sdwa v114, sext(v114) dst_sel:DWORD dst_unused:UNUSED_PAD src0_sel:BYTE_0
	v_pk_mul_f16 v115, v115, v108
	v_cvt_f16_i16_sdwa v116, sext(v116) dst_sel:DWORD dst_unused:UNUSED_PAD src0_sel:BYTE_0
	v_pk_fma_f16 v112, v115, v18, v112
	v_pack_b32_f16 v114, v114, v116
	buffer_load_dword v116, off, s[96:99], 0 offset:428 ; 4-byte Folded Reload
	v_pk_mul_f16 v108, v114, v108
	v_pk_fma_f16 v18, v108, v18, v110
	v_add_co_u32 v108, vcc_lo, v196, s8
	v_add_co_ci_u32_e64 v109, null, 0, v151, vcc_lo
	global_load_dword v110, v[108:109], off
	v_add_co_u32 v108, vcc_lo, v199, s8
	v_add_co_ci_u32_e64 v109, null, 0, v152, vcc_lo
	global_load_ushort v113, v[108:109], off
	v_add_co_u32 v108, vcc_lo, v167, s8
	v_add_co_ci_u32_e64 v109, null, 0, v193, vcc_lo
	buffer_load_dword v167, off, s[96:99], 0 offset:156 ; 4-byte Folded Reload
	v_mov_b32_e32 v193, v189
	global_load_dword v114, v[108:109], off
	v_add_co_u32 v108, vcc_lo, v194, s8
	v_add_co_ci_u32_e64 v109, null, 0, v150, vcc_lo
	global_load_ushort v108, v[108:109], off
	s_waitcnt vmcnt(4)
	v_ashrrev_i32_e32 v109, v105, v110
	v_and_b32_e32 v109, 0xf0f0f0f, v109
	s_waitcnt vmcnt(3)
	v_mul_u32_u24_e32 v113, 0x10001, v113
	v_lshlrev_b16 v110, 8, v109
	v_and_b32_e32 v115, 0xf00, v109
	v_lshrrev_b32_e32 v109, 16, v109
	v_add_nc_u16 v110, 0xf800, v110
	v_or_b32_sdwa v110, v115, v110 dst_sel:DWORD dst_unused:UNUSED_PAD src0_sel:DWORD src1_sel:BYTE_1
	v_lshlrev_b16 v115, 8, v109
	v_and_b32_e32 v109, 0xf00, v109
	s_waitcnt vmcnt(0)
	v_mul_u32_u24_e32 v108, 0x10001, v108
	v_add_nc_u16 v110, 0xf800, v110
	v_add_nc_u16 v115, 0xf800, v115
	v_or_b32_sdwa v109, v109, v115 dst_sel:DWORD dst_unused:UNUSED_PAD src0_sel:DWORD src1_sel:BYTE_1
	v_lshrrev_b32_e32 v115, 8, v110
	v_cvt_f16_i16_sdwa v110, sext(v110) dst_sel:DWORD dst_unused:UNUSED_PAD src0_sel:BYTE_0
	v_add_nc_u16 v109, 0xf800, v109
	v_cvt_f16_i16_sdwa v115, sext(v115) dst_sel:DWORD dst_unused:UNUSED_PAD src0_sel:BYTE_0
	v_pack_b32_f16 v110, v110, v115
	v_lshrrev_b32_e32 v115, 8, v109
	v_cvt_f16_i16_sdwa v109, sext(v109) dst_sel:DWORD dst_unused:UNUSED_PAD src0_sel:BYTE_0
	v_pk_mul_f16 v110, v110, v113
	v_cvt_f16_i16_sdwa v115, sext(v115) dst_sel:DWORD dst_unused:UNUSED_PAD src0_sel:BYTE_0
	v_pk_fma_f16 v110, v110, v19, v111
	v_pack_b32_f16 v109, v109, v115
	v_pk_mul_f16 v109, v109, v113
	v_ashrrev_i32_e32 v113, v105, v114
	v_pk_fma_f16 v25, v109, v19, v25
	v_and_b32_e32 v113, 0xf0f0f0f, v113
	v_lshlrev_b16 v114, 8, v113
	v_and_b32_e32 v115, 0xf00, v113
	v_lshrrev_b32_e32 v113, 16, v113
	v_add_nc_u16 v114, 0xf800, v114
	v_or_b32_sdwa v114, v115, v114 dst_sel:DWORD dst_unused:UNUSED_PAD src0_sel:DWORD src1_sel:BYTE_1
	v_lshlrev_b16 v115, 8, v113
	v_and_b32_e32 v113, 0xf00, v113
	v_add_nc_u16 v114, 0xf800, v114
	v_add_nc_u16 v115, 0xf800, v115
	v_or_b32_sdwa v113, v113, v115 dst_sel:DWORD dst_unused:UNUSED_PAD src0_sel:DWORD src1_sel:BYTE_1
	v_lshrrev_b32_e32 v115, 8, v114
	v_cvt_f16_i16_sdwa v114, sext(v114) dst_sel:DWORD dst_unused:UNUSED_PAD src0_sel:BYTE_0
	v_add_nc_u16 v113, 0xf800, v113
	v_cvt_f16_i16_sdwa v115, sext(v115) dst_sel:DWORD dst_unused:UNUSED_PAD src0_sel:BYTE_0
	v_pack_b32_f16 v114, v114, v115
	v_lshrrev_b32_e32 v115, 8, v113
	v_cvt_f16_i16_sdwa v113, sext(v113) dst_sel:DWORD dst_unused:UNUSED_PAD src0_sel:BYTE_0
	v_pk_mul_f16 v114, v114, v108
	v_cvt_f16_i16_sdwa v115, sext(v115) dst_sel:DWORD dst_unused:UNUSED_PAD src0_sel:BYTE_0
	v_pk_fma_f16 v109, v114, v19, v112
	v_pack_b32_f16 v113, v113, v115
	buffer_load_dword v115, off, s[96:99], 0 offset:424 ; 4-byte Folded Reload
	v_pk_mul_f16 v108, v113, v108
	v_pk_fma_f16 v108, v108, v19, v18
	v_add_co_u32 v18, vcc_lo, v189, s8
	v_add_co_ci_u32_e64 v19, null, 0, v192, vcc_lo
	v_mov_b32_e32 v189, v181
	global_load_dword v111, v[18:19], off
	v_add_co_u32 v18, vcc_lo, v148, s8
	v_add_co_ci_u32_e64 v19, null, 0, v149, vcc_lo
	global_load_ushort v112, v[18:19], off
	v_add_co_u32 v18, vcc_lo, v187, s8
	v_add_co_ci_u32_e64 v19, null, 0, v145, vcc_lo
	global_load_dword v113, v[18:19], off
	v_add_co_u32 v18, vcc_lo, v188, s8
	v_add_co_ci_u32_e64 v19, null, 0, v146, vcc_lo
	global_load_ushort v18, v[18:19], off
	s_waitcnt vmcnt(3)
	v_ashrrev_i32_e32 v19, v105, v111
	v_and_b32_e32 v19, 0xf0f0f0f, v19
	s_waitcnt vmcnt(2)
	v_mul_u32_u24_e32 v112, 0x10001, v112
	v_lshlrev_b16 v111, 8, v19
	v_and_b32_e32 v114, 0xf00, v19
	v_lshrrev_b32_e32 v19, 16, v19
	v_add_nc_u16 v111, 0xf800, v111
	v_or_b32_sdwa v111, v114, v111 dst_sel:DWORD dst_unused:UNUSED_PAD src0_sel:DWORD src1_sel:BYTE_1
	v_lshlrev_b16 v114, 8, v19
	v_and_b32_e32 v19, 0xf00, v19
	s_waitcnt vmcnt(0)
	v_mul_u32_u24_e32 v18, 0x10001, v18
	v_add_nc_u16 v111, 0xf800, v111
	v_add_nc_u16 v114, 0xf800, v114
	v_or_b32_sdwa v19, v19, v114 dst_sel:DWORD dst_unused:UNUSED_PAD src0_sel:DWORD src1_sel:BYTE_1
	v_lshrrev_b32_e32 v114, 8, v111
	v_cvt_f16_i16_sdwa v111, sext(v111) dst_sel:DWORD dst_unused:UNUSED_PAD src0_sel:BYTE_0
	v_add_nc_u16 v19, 0xf800, v19
	v_cvt_f16_i16_sdwa v114, sext(v114) dst_sel:DWORD dst_unused:UNUSED_PAD src0_sel:BYTE_0
	v_pack_b32_f16 v111, v111, v114
	v_lshrrev_b32_e32 v114, 8, v19
	v_cvt_f16_i16_sdwa v19, sext(v19) dst_sel:DWORD dst_unused:UNUSED_PAD src0_sel:BYTE_0
	v_pk_mul_f16 v111, v111, v112
	v_cvt_f16_i16_sdwa v114, sext(v114) dst_sel:DWORD dst_unused:UNUSED_PAD src0_sel:BYTE_0
	v_pk_fma_f16 v110, v111, v20, v110
	v_pack_b32_f16 v19, v19, v114
	v_pk_mul_f16 v19, v19, v112
	v_ashrrev_i32_e32 v112, v105, v113
	v_pk_fma_f16 v25, v19, v20, v25
	v_and_b32_e32 v112, 0xf0f0f0f, v112
	v_lshlrev_b16 v113, 8, v112
	v_and_b32_e32 v114, 0xf00, v112
	v_lshrrev_b32_e32 v112, 16, v112
	v_add_nc_u16 v113, 0xf800, v113
	v_or_b32_sdwa v113, v114, v113 dst_sel:DWORD dst_unused:UNUSED_PAD src0_sel:DWORD src1_sel:BYTE_1
	v_lshlrev_b16 v114, 8, v112
	v_and_b32_e32 v112, 0xf00, v112
	v_add_nc_u16 v113, 0xf800, v113
	v_add_nc_u16 v114, 0xf800, v114
	v_or_b32_sdwa v112, v112, v114 dst_sel:DWORD dst_unused:UNUSED_PAD src0_sel:DWORD src1_sel:BYTE_1
	v_lshrrev_b32_e32 v114, 8, v113
	v_cvt_f16_i16_sdwa v113, sext(v113) dst_sel:DWORD dst_unused:UNUSED_PAD src0_sel:BYTE_0
	v_add_nc_u16 v112, 0xf800, v112
	v_cvt_f16_i16_sdwa v114, sext(v114) dst_sel:DWORD dst_unused:UNUSED_PAD src0_sel:BYTE_0
	v_pack_b32_f16 v113, v113, v114
	v_lshrrev_b32_e32 v114, 8, v112
	v_cvt_f16_i16_sdwa v112, sext(v112) dst_sel:DWORD dst_unused:UNUSED_PAD src0_sel:BYTE_0
	v_pk_mul_f16 v113, v113, v18
	v_cvt_f16_i16_sdwa v114, sext(v114) dst_sel:DWORD dst_unused:UNUSED_PAD src0_sel:BYTE_0
	v_pk_fma_f16 v109, v113, v20, v109
	v_pack_b32_f16 v112, v112, v114
	buffer_load_dword v114, off, s[96:99], 0 offset:420 ; 4-byte Folded Reload
	v_pk_mul_f16 v18, v112, v18
	v_pk_fma_f16 v20, v18, v20, v108
	v_add_co_u32 v18, vcc_lo, v181, s8
	v_add_co_ci_u32_e64 v19, null, 0, v183, vcc_lo
	v_mov_b32_e32 v181, v180
	global_load_dword v108, v[18:19], off
	v_add_co_u32 v18, vcc_lo, v182, s8
	v_add_co_ci_u32_e64 v19, null, 0, v144, vcc_lo
	global_load_ushort v111, v[18:19], off
	v_add_co_u32 v18, vcc_lo, v177, s8
	v_add_co_ci_u32_e64 v19, null, 0, v178, vcc_lo
	global_load_dword v112, v[18:19], off
	v_add_co_u32 v18, vcc_lo, v179, s8
	v_add_co_ci_u32_e64 v19, null, 0, v180, vcc_lo
	v_mov_b32_e32 v180, v179
	v_mov_b32_e32 v179, v178
	;; [unrolled: 1-line block ×3, first 2 shown]
	global_load_ushort v18, v[18:19], off
	v_mov_b32_e32 v177, v176
	s_waitcnt vmcnt(3)
	v_ashrrev_i32_e32 v19, v105, v108
	v_and_b32_e32 v19, 0xf0f0f0f, v19
	s_waitcnt vmcnt(2)
	v_mul_u32_u24_e32 v111, 0x10001, v111
	v_lshlrev_b16 v108, 8, v19
	v_and_b32_e32 v113, 0xf00, v19
	v_lshrrev_b32_e32 v19, 16, v19
	v_add_nc_u16 v108, 0xf800, v108
	v_or_b32_sdwa v108, v113, v108 dst_sel:DWORD dst_unused:UNUSED_PAD src0_sel:DWORD src1_sel:BYTE_1
	v_lshlrev_b16 v113, 8, v19
	v_and_b32_e32 v19, 0xf00, v19
	s_waitcnt vmcnt(0)
	v_mul_u32_u24_e32 v18, 0x10001, v18
	v_add_nc_u16 v108, 0xf800, v108
	v_add_nc_u16 v113, 0xf800, v113
	v_or_b32_sdwa v19, v19, v113 dst_sel:DWORD dst_unused:UNUSED_PAD src0_sel:DWORD src1_sel:BYTE_1
	v_lshrrev_b32_e32 v113, 8, v108
	v_cvt_f16_i16_sdwa v108, sext(v108) dst_sel:DWORD dst_unused:UNUSED_PAD src0_sel:BYTE_0
	v_add_nc_u16 v19, 0xf800, v19
	v_cvt_f16_i16_sdwa v113, sext(v113) dst_sel:DWORD dst_unused:UNUSED_PAD src0_sel:BYTE_0
	v_pack_b32_f16 v108, v108, v113
	v_lshrrev_b32_e32 v113, 8, v19
	v_cvt_f16_i16_sdwa v19, sext(v19) dst_sel:DWORD dst_unused:UNUSED_PAD src0_sel:BYTE_0
	v_pk_mul_f16 v108, v108, v111
	v_cvt_f16_i16_sdwa v113, sext(v113) dst_sel:DWORD dst_unused:UNUSED_PAD src0_sel:BYTE_0
	v_pk_fma_f16 v108, v108, v22, v110
	v_pack_b32_f16 v19, v19, v113
	v_pk_mul_f16 v19, v19, v111
	v_ashrrev_i32_e32 v111, v105, v112
	v_pk_fma_f16 v25, v19, v22, v25
	v_and_b32_e32 v111, 0xf0f0f0f, v111
	v_lshlrev_b16 v112, 8, v111
	v_and_b32_e32 v113, 0xf00, v111
	v_lshrrev_b32_e32 v111, 16, v111
	v_add_nc_u16 v112, 0xf800, v112
	v_or_b32_sdwa v112, v113, v112 dst_sel:DWORD dst_unused:UNUSED_PAD src0_sel:DWORD src1_sel:BYTE_1
	v_lshlrev_b16 v113, 8, v111
	v_and_b32_e32 v111, 0xf00, v111
	v_add_nc_u16 v112, 0xf800, v112
	v_add_nc_u16 v113, 0xf800, v113
	v_or_b32_sdwa v111, v111, v113 dst_sel:DWORD dst_unused:UNUSED_PAD src0_sel:DWORD src1_sel:BYTE_1
	v_lshrrev_b32_e32 v113, 8, v112
	v_cvt_f16_i16_sdwa v112, sext(v112) dst_sel:DWORD dst_unused:UNUSED_PAD src0_sel:BYTE_0
	v_add_nc_u16 v111, 0xf800, v111
	v_cvt_f16_i16_sdwa v113, sext(v113) dst_sel:DWORD dst_unused:UNUSED_PAD src0_sel:BYTE_0
	v_pack_b32_f16 v112, v112, v113
	v_lshrrev_b32_e32 v113, 8, v111
	v_cvt_f16_i16_sdwa v111, sext(v111) dst_sel:DWORD dst_unused:UNUSED_PAD src0_sel:BYTE_0
	v_pk_mul_f16 v112, v112, v18
	v_cvt_f16_i16_sdwa v113, sext(v113) dst_sel:DWORD dst_unused:UNUSED_PAD src0_sel:BYTE_0
	v_pk_fma_f16 v109, v112, v22, v109
	v_pack_b32_f16 v111, v111, v113
	buffer_load_dword v113, off, s[96:99], 0 offset:216 ; 4-byte Folded Reload
	v_pk_mul_f16 v18, v111, v18
	v_pk_fma_f16 v20, v18, v22, v20
	v_add_co_u32 v18, vcc_lo, v68, s8
	v_add_co_ci_u32_e64 v19, null, 0, v174, vcc_lo
	global_load_dword v22, v[18:19], off
	v_add_co_u32 v18, vcc_lo, v175, s8
	v_add_co_ci_u32_e64 v19, null, 0, v176, vcc_lo
	v_mov_b32_e32 v176, v175
	v_mov_b32_e32 v175, v174
	;; [unrolled: 1-line block ×3, first 2 shown]
	global_load_ushort v110, v[18:19], off
	s_waitcnt vmcnt(2)
	v_add_co_u32 v18, vcc_lo, v113, s8
	v_add_co_ci_u32_e64 v19, null, 0, v170, vcc_lo
	v_mov_b32_e32 v170, v113
	buffer_load_dword v113, off, s[96:99], 0 offset:416 ; 4-byte Folded Reload
	global_load_dword v111, v[18:19], off
	v_add_co_u32 v18, vcc_lo, v173, s8
	v_add_co_ci_u32_e64 v19, null, 0, v66, vcc_lo
	global_load_ushort v18, v[18:19], off
	s_waitcnt vmcnt(4)
	v_ashrrev_i32_e32 v19, v105, v22
	v_and_b32_e32 v19, 0xf0f0f0f, v19
	s_waitcnt vmcnt(3)
	v_mul_u32_u24_e32 v110, 0x10001, v110
	v_lshlrev_b16 v22, 8, v19
	v_and_b32_e32 v112, 0xf00, v19
	v_lshrrev_b32_e32 v19, 16, v19
	v_add_nc_u16 v22, 0xf800, v22
	v_or_b32_sdwa v22, v112, v22 dst_sel:DWORD dst_unused:UNUSED_PAD src0_sel:DWORD src1_sel:BYTE_1
	v_lshlrev_b16 v112, 8, v19
	v_and_b32_e32 v19, 0xf00, v19
	v_add_nc_u16 v22, 0xf800, v22
	v_add_nc_u16 v112, 0xf800, v112
	v_or_b32_sdwa v19, v19, v112 dst_sel:DWORD dst_unused:UNUSED_PAD src0_sel:DWORD src1_sel:BYTE_1
	v_lshrrev_b32_e32 v112, 8, v22
	v_cvt_f16_i16_sdwa v22, sext(v22) dst_sel:DWORD dst_unused:UNUSED_PAD src0_sel:BYTE_0
	v_add_nc_u16 v19, 0xf800, v19
	v_cvt_f16_i16_sdwa v112, sext(v112) dst_sel:DWORD dst_unused:UNUSED_PAD src0_sel:BYTE_0
	v_pack_b32_f16 v22, v22, v112
	v_lshrrev_b32_e32 v112, 8, v19
	v_cvt_f16_i16_sdwa v19, sext(v19) dst_sel:DWORD dst_unused:UNUSED_PAD src0_sel:BYTE_0
	v_pk_mul_f16 v22, v22, v110
	v_cvt_f16_i16_sdwa v112, sext(v112) dst_sel:DWORD dst_unused:UNUSED_PAD src0_sel:BYTE_0
	v_pk_fma_f16 v22, v22, v23, v108
	v_pack_b32_f16 v19, v19, v112
	v_pk_mul_f16 v19, v19, v110
	v_pk_fma_f16 v25, v19, v23, v25
	s_waitcnt vmcnt(1)
	v_ashrrev_i32_e32 v110, v105, v111
	v_and_b32_e32 v110, 0xf0f0f0f, v110
	s_waitcnt vmcnt(0)
	v_mul_u32_u24_e32 v18, 0x10001, v18
	v_lshlrev_b16 v111, 8, v110
	v_and_b32_e32 v112, 0xf00, v110
	v_lshrrev_b32_e32 v110, 16, v110
	v_add_nc_u16 v111, 0xf800, v111
	v_or_b32_sdwa v111, v112, v111 dst_sel:DWORD dst_unused:UNUSED_PAD src0_sel:DWORD src1_sel:BYTE_1
	v_lshlrev_b16 v112, 8, v110
	v_and_b32_e32 v110, 0xf00, v110
	v_add_nc_u16 v111, 0xf800, v111
	v_add_nc_u16 v112, 0xf800, v112
	v_or_b32_sdwa v110, v110, v112 dst_sel:DWORD dst_unused:UNUSED_PAD src0_sel:DWORD src1_sel:BYTE_1
	v_lshrrev_b32_e32 v112, 8, v111
	v_cvt_f16_i16_sdwa v111, sext(v111) dst_sel:DWORD dst_unused:UNUSED_PAD src0_sel:BYTE_0
	v_add_nc_u16 v110, 0xf800, v110
	v_cvt_f16_i16_sdwa v112, sext(v112) dst_sel:DWORD dst_unused:UNUSED_PAD src0_sel:BYTE_0
	v_pack_b32_f16 v111, v111, v112
	v_lshrrev_b32_e32 v112, 8, v110
	v_cvt_f16_i16_sdwa v110, sext(v110) dst_sel:DWORD dst_unused:UNUSED_PAD src0_sel:BYTE_0
	v_pk_mul_f16 v111, v111, v18
	v_cvt_f16_i16_sdwa v112, sext(v112) dst_sel:DWORD dst_unused:UNUSED_PAD src0_sel:BYTE_0
	v_pk_fma_f16 v108, v111, v23, v109
	v_pack_b32_f16 v110, v110, v112
	buffer_load_dword v112, off, s[96:99], 0 offset:412 ; 4-byte Folded Reload
	v_pk_mul_f16 v18, v110, v18
	v_pk_fma_f16 v20, v18, v23, v20
	v_add_co_u32 v18, vcc_lo, v141, s8
	v_add_co_ci_u32_e64 v19, null, 0, v167, vcc_lo
	global_load_dword v23, v[18:19], off
	v_add_co_u32 v18, vcc_lo, v168, s8
	v_add_co_ci_u32_e64 v19, null, 0, v169, vcc_lo
	global_load_ushort v109, v[18:19], off
	v_add_co_u32 v18, vcc_lo, v137, s8
	v_add_co_ci_u32_e64 v19, null, 0, v138, vcc_lo
	global_load_dword v110, v[18:19], off
	v_add_co_u32 v18, vcc_lo, v139, s8
	v_add_co_ci_u32_e64 v19, null, 0, v140, vcc_lo
	global_load_ushort v18, v[18:19], off
	s_waitcnt vmcnt(3)
	v_ashrrev_i32_e32 v19, v105, v23
	v_and_b32_e32 v19, 0xf0f0f0f, v19
	s_waitcnt vmcnt(2)
	v_mul_u32_u24_e32 v109, 0x10001, v109
	v_lshlrev_b16 v23, 8, v19
	v_and_b32_e32 v111, 0xf00, v19
	v_lshrrev_b32_e32 v19, 16, v19
	v_add_nc_u16 v23, 0xf800, v23
	v_or_b32_sdwa v23, v111, v23 dst_sel:DWORD dst_unused:UNUSED_PAD src0_sel:DWORD src1_sel:BYTE_1
	v_lshlrev_b16 v111, 8, v19
	v_and_b32_e32 v19, 0xf00, v19
	s_waitcnt vmcnt(0)
	v_mul_u32_u24_e32 v18, 0x10001, v18
	v_add_nc_u16 v23, 0xf800, v23
	v_add_nc_u16 v111, 0xf800, v111
	v_or_b32_sdwa v19, v19, v111 dst_sel:DWORD dst_unused:UNUSED_PAD src0_sel:DWORD src1_sel:BYTE_1
	v_lshrrev_b32_e32 v111, 8, v23
	v_cvt_f16_i16_sdwa v23, sext(v23) dst_sel:DWORD dst_unused:UNUSED_PAD src0_sel:BYTE_0
	v_add_nc_u16 v19, 0xf800, v19
	v_cvt_f16_i16_sdwa v111, sext(v111) dst_sel:DWORD dst_unused:UNUSED_PAD src0_sel:BYTE_0
	v_pack_b32_f16 v23, v23, v111
	v_lshrrev_b32_e32 v111, 8, v19
	v_cvt_f16_i16_sdwa v19, sext(v19) dst_sel:DWORD dst_unused:UNUSED_PAD src0_sel:BYTE_0
	v_pk_mul_f16 v23, v23, v109
	v_cvt_f16_i16_sdwa v111, sext(v111) dst_sel:DWORD dst_unused:UNUSED_PAD src0_sel:BYTE_0
	v_pk_fma_f16 v22, v23, v121, v22
	v_pack_b32_f16 v19, v19, v111
	v_pk_mul_f16 v19, v19, v109
	v_ashrrev_i32_e32 v109, v105, v110
	v_pk_fma_f16 v23, v19, v121, v25
	v_and_b32_e32 v109, 0xf0f0f0f, v109
	v_lshlrev_b16 v110, 8, v109
	v_and_b32_e32 v111, 0xf00, v109
	v_lshrrev_b32_e32 v109, 16, v109
	v_add_nc_u16 v110, 0xf800, v110
	v_or_b32_sdwa v110, v111, v110 dst_sel:DWORD dst_unused:UNUSED_PAD src0_sel:DWORD src1_sel:BYTE_1
	v_lshlrev_b16 v111, 8, v109
	v_and_b32_e32 v109, 0xf00, v109
	v_add_nc_u16 v110, 0xf800, v110
	v_add_nc_u16 v111, 0xf800, v111
	v_or_b32_sdwa v109, v109, v111 dst_sel:DWORD dst_unused:UNUSED_PAD src0_sel:DWORD src1_sel:BYTE_1
	v_lshrrev_b32_e32 v111, 8, v110
	v_cvt_f16_i16_sdwa v110, sext(v110) dst_sel:DWORD dst_unused:UNUSED_PAD src0_sel:BYTE_0
	v_add_nc_u16 v109, 0xf800, v109
	v_cvt_f16_i16_sdwa v111, sext(v111) dst_sel:DWORD dst_unused:UNUSED_PAD src0_sel:BYTE_0
	v_pack_b32_f16 v110, v110, v111
	v_lshrrev_b32_e32 v111, 8, v109
	v_cvt_f16_i16_sdwa v109, sext(v109) dst_sel:DWORD dst_unused:UNUSED_PAD src0_sel:BYTE_0
	v_pk_mul_f16 v110, v110, v18
	v_cvt_f16_i16_sdwa v111, sext(v111) dst_sel:DWORD dst_unused:UNUSED_PAD src0_sel:BYTE_0
	v_pk_fma_f16 v25, v110, v121, v108
	v_pack_b32_f16 v109, v109, v111
	v_pk_mul_f16 v18, v109, v18
	v_pk_fma_f16 v20, v18, v121, v20
	v_add_co_u32 v18, vcc_lo, v133, s8
	v_add_co_ci_u32_e64 v19, null, 0, v134, vcc_lo
	buffer_load_dword v121, off, s[96:99], 0 offset:448 ; 4-byte Folded Reload
	global_load_dword v108, v[18:19], off
	v_add_co_u32 v18, vcc_lo, v135, s8
	v_add_co_ci_u32_e64 v19, null, 0, v136, vcc_lo
	global_load_ushort v109, v[18:19], off
	v_add_co_u32 v18, vcc_lo, v128, s8
	v_add_co_ci_u32_e64 v19, null, 0, v130, vcc_lo
	global_load_dword v110, v[18:19], off
	v_add_co_u32 v18, vcc_lo, v131, s8
	v_add_co_ci_u32_e64 v19, null, 0, v132, vcc_lo
	global_load_ushort v18, v[18:19], off
	s_waitcnt vmcnt(3)
	v_ashrrev_i32_e32 v19, v105, v108
	v_and_b32_e32 v19, 0xf0f0f0f, v19
	s_waitcnt vmcnt(2)
	v_mul_u32_u24_e32 v109, 0x10001, v109
	v_lshlrev_b16 v108, 8, v19
	v_and_b32_e32 v111, 0xf00, v19
	v_lshrrev_b32_e32 v19, 16, v19
	v_add_nc_u16 v108, 0xf800, v108
	v_or_b32_sdwa v108, v111, v108 dst_sel:DWORD dst_unused:UNUSED_PAD src0_sel:DWORD src1_sel:BYTE_1
	v_lshlrev_b16 v111, 8, v19
	v_and_b32_e32 v19, 0xf00, v19
	s_waitcnt vmcnt(0)
	v_mul_u32_u24_e32 v18, 0x10001, v18
	v_add_nc_u16 v108, 0xf800, v108
	v_add_nc_u16 v111, 0xf800, v111
	v_or_b32_sdwa v19, v19, v111 dst_sel:DWORD dst_unused:UNUSED_PAD src0_sel:DWORD src1_sel:BYTE_1
	v_lshrrev_b32_e32 v111, 8, v108
	v_cvt_f16_i16_sdwa v108, sext(v108) dst_sel:DWORD dst_unused:UNUSED_PAD src0_sel:BYTE_0
	v_add_nc_u16 v19, 0xf800, v19
	v_cvt_f16_i16_sdwa v111, sext(v111) dst_sel:DWORD dst_unused:UNUSED_PAD src0_sel:BYTE_0
	v_pack_b32_f16 v108, v108, v111
	v_lshrrev_b32_e32 v111, 8, v19
	v_cvt_f16_i16_sdwa v19, sext(v19) dst_sel:DWORD dst_unused:UNUSED_PAD src0_sel:BYTE_0
	v_pk_mul_f16 v108, v108, v109
	v_cvt_f16_i16_sdwa v111, sext(v111) dst_sel:DWORD dst_unused:UNUSED_PAD src0_sel:BYTE_0
	v_pk_fma_f16 v22, v108, v24, v22
	v_pack_b32_f16 v19, v19, v111
	v_pk_mul_f16 v19, v19, v109
	v_ashrrev_i32_e32 v109, v105, v110
	v_pk_fma_f16 v23, v19, v24, v23
	v_and_b32_e32 v109, 0xf0f0f0f, v109
	v_lshlrev_b16 v110, 8, v109
	v_and_b32_e32 v111, 0xf00, v109
	v_lshrrev_b32_e32 v109, 16, v109
	v_add_nc_u16 v110, 0xf800, v110
	v_or_b32_sdwa v110, v111, v110 dst_sel:DWORD dst_unused:UNUSED_PAD src0_sel:DWORD src1_sel:BYTE_1
	v_lshlrev_b16 v111, 8, v109
	v_and_b32_e32 v109, 0xf00, v109
	v_add_nc_u16 v110, 0xf800, v110
	v_add_nc_u16 v111, 0xf800, v111
	v_or_b32_sdwa v109, v109, v111 dst_sel:DWORD dst_unused:UNUSED_PAD src0_sel:DWORD src1_sel:BYTE_1
	v_lshrrev_b32_e32 v111, 8, v110
	v_cvt_f16_i16_sdwa v110, sext(v110) dst_sel:DWORD dst_unused:UNUSED_PAD src0_sel:BYTE_0
	v_add_nc_u16 v109, 0xf800, v109
	v_cvt_f16_i16_sdwa v111, sext(v111) dst_sel:DWORD dst_unused:UNUSED_PAD src0_sel:BYTE_0
	v_pack_b32_f16 v110, v110, v111
	v_lshrrev_b32_e32 v111, 8, v109
	v_cvt_f16_i16_sdwa v109, sext(v109) dst_sel:DWORD dst_unused:UNUSED_PAD src0_sel:BYTE_0
	v_pk_mul_f16 v110, v110, v18
	v_cvt_f16_i16_sdwa v111, sext(v111) dst_sel:DWORD dst_unused:UNUSED_PAD src0_sel:BYTE_0
	v_pk_fma_f16 v25, v110, v24, v25
	v_pack_b32_f16 v109, v109, v111
	buffer_load_dword v111, off, s[96:99], 0 offset:408 ; 4-byte Folded Reload
	v_pk_mul_f16 v18, v109, v18
	v_pk_fma_f16 v20, v18, v24, v20
	v_add_co_u32 v18, vcc_lo, v124, s8
	v_add_co_ci_u32_e64 v19, null, 0, v125, vcc_lo
	global_load_dword v24, v[18:19], off
	v_add_co_u32 v18, vcc_lo, v126, s8
	v_add_co_ci_u32_e64 v19, null, 0, v127, vcc_lo
	global_load_ushort v108, v[18:19], off
	v_add_co_u32 v18, vcc_lo, v119, s8
	v_add_co_ci_u32_e64 v19, null, 0, v120, vcc_lo
	global_load_dword v109, v[18:19], off
	v_add_co_u32 v18, vcc_lo, v121, s8
	v_add_co_ci_u32_e64 v19, null, 0, v122, vcc_lo
	global_load_ushort v18, v[18:19], off
	s_waitcnt vmcnt(3)
	v_ashrrev_i32_e32 v19, v105, v24
	v_and_b32_e32 v19, 0xf0f0f0f, v19
	s_waitcnt vmcnt(2)
	v_mul_u32_u24_e32 v108, 0x10001, v108
	v_lshlrev_b16 v24, 8, v19
	v_and_b32_e32 v110, 0xf00, v19
	v_lshrrev_b32_e32 v19, 16, v19
	v_add_nc_u16 v24, 0xf800, v24
	v_or_b32_sdwa v24, v110, v24 dst_sel:DWORD dst_unused:UNUSED_PAD src0_sel:DWORD src1_sel:BYTE_1
	v_lshlrev_b16 v110, 8, v19
	v_and_b32_e32 v19, 0xf00, v19
	s_waitcnt vmcnt(0)
	v_mul_u32_u24_e32 v18, 0x10001, v18
	v_add_nc_u16 v24, 0xf800, v24
	v_add_nc_u16 v110, 0xf800, v110
	v_or_b32_sdwa v19, v19, v110 dst_sel:DWORD dst_unused:UNUSED_PAD src0_sel:DWORD src1_sel:BYTE_1
	v_lshrrev_b32_e32 v110, 8, v24
	v_cvt_f16_i16_sdwa v24, sext(v24) dst_sel:DWORD dst_unused:UNUSED_PAD src0_sel:BYTE_0
	v_add_nc_u16 v19, 0xf800, v19
	v_cvt_f16_i16_sdwa v110, sext(v110) dst_sel:DWORD dst_unused:UNUSED_PAD src0_sel:BYTE_0
	v_pack_b32_f16 v24, v24, v110
	v_lshrrev_b32_e32 v110, 8, v19
	v_cvt_f16_i16_sdwa v19, sext(v19) dst_sel:DWORD dst_unused:UNUSED_PAD src0_sel:BYTE_0
	v_pk_mul_f16 v24, v24, v108
	v_cvt_f16_i16_sdwa v110, sext(v110) dst_sel:DWORD dst_unused:UNUSED_PAD src0_sel:BYTE_0
	v_pk_fma_f16 v22, v24, v123, v22
	v_pack_b32_f16 v19, v19, v110
	v_pk_mul_f16 v19, v19, v108
	v_ashrrev_i32_e32 v108, v105, v109
	v_pk_fma_f16 v23, v19, v123, v23
	v_and_b32_e32 v108, 0xf0f0f0f, v108
	v_lshlrev_b16 v109, 8, v108
	v_and_b32_e32 v110, 0xf00, v108
	v_lshrrev_b32_e32 v108, 16, v108
	v_add_nc_u16 v109, 0xf800, v109
	v_or_b32_sdwa v109, v110, v109 dst_sel:DWORD dst_unused:UNUSED_PAD src0_sel:DWORD src1_sel:BYTE_1
	v_lshlrev_b16 v110, 8, v108
	v_and_b32_e32 v108, 0xf00, v108
	v_add_nc_u16 v109, 0xf800, v109
	v_add_nc_u16 v110, 0xf800, v110
	v_or_b32_sdwa v108, v108, v110 dst_sel:DWORD dst_unused:UNUSED_PAD src0_sel:DWORD src1_sel:BYTE_1
	v_lshrrev_b32_e32 v110, 8, v109
	v_cvt_f16_i16_sdwa v109, sext(v109) dst_sel:DWORD dst_unused:UNUSED_PAD src0_sel:BYTE_0
	v_add_nc_u16 v108, 0xf800, v108
	v_cvt_f16_i16_sdwa v110, sext(v110) dst_sel:DWORD dst_unused:UNUSED_PAD src0_sel:BYTE_0
	v_pack_b32_f16 v109, v109, v110
	v_lshrrev_b32_e32 v110, 8, v108
	v_cvt_f16_i16_sdwa v108, sext(v108) dst_sel:DWORD dst_unused:UNUSED_PAD src0_sel:BYTE_0
	v_pk_mul_f16 v109, v109, v18
	v_cvt_f16_i16_sdwa v110, sext(v110) dst_sel:DWORD dst_unused:UNUSED_PAD src0_sel:BYTE_0
	v_pk_fma_f16 v24, v109, v123, v25
	v_pack_b32_f16 v108, v108, v110
	v_pk_mul_f16 v18, v108, v18
	v_pk_fma_f16 v20, v18, v123, v20
	v_add_co_u32 v18, vcc_lo, v115, s8
	v_add_co_ci_u32_e64 v19, null, 0, v116, vcc_lo
	global_load_dword v25, v[18:19], off
	v_add_co_u32 v18, vcc_lo, v117, s8
	v_add_co_ci_u32_e64 v19, null, 0, v118, vcc_lo
	global_load_ushort v108, v[18:19], off
	v_add_co_u32 v18, vcc_lo, v111, s8
	v_add_co_ci_u32_e64 v19, null, 0, v112, vcc_lo
	global_load_dword v109, v[18:19], off
	v_add_co_u32 v18, vcc_lo, v113, s8
	v_add_co_ci_u32_e64 v19, null, 0, v114, vcc_lo
	global_load_ushort v18, v[18:19], off
	s_waitcnt vmcnt(3)
	v_ashrrev_i32_e32 v19, v105, v25
	v_and_b32_e32 v19, 0xf0f0f0f, v19
	s_waitcnt vmcnt(2)
	v_mul_u32_u24_e32 v108, 0x10001, v108
	v_lshlrev_b16 v25, 8, v19
	v_and_b32_e32 v110, 0xf00, v19
	v_lshrrev_b32_e32 v19, 16, v19
	v_add_nc_u16 v25, 0xf800, v25
	v_or_b32_sdwa v25, v110, v25 dst_sel:DWORD dst_unused:UNUSED_PAD src0_sel:DWORD src1_sel:BYTE_1
	v_lshlrev_b16 v110, 8, v19
	v_and_b32_e32 v19, 0xf00, v19
	s_waitcnt vmcnt(0)
	v_mul_u32_u24_e32 v18, 0x10001, v18
	v_add_nc_u16 v25, 0xf800, v25
	v_add_nc_u16 v110, 0xf800, v110
	v_or_b32_sdwa v19, v19, v110 dst_sel:DWORD dst_unused:UNUSED_PAD src0_sel:DWORD src1_sel:BYTE_1
	v_lshrrev_b32_e32 v110, 8, v25
	v_cvt_f16_i16_sdwa v25, sext(v25) dst_sel:DWORD dst_unused:UNUSED_PAD src0_sel:BYTE_0
	v_add_nc_u16 v19, 0xf800, v19
	v_cvt_f16_i16_sdwa v110, sext(v110) dst_sel:DWORD dst_unused:UNUSED_PAD src0_sel:BYTE_0
	v_pack_b32_f16 v25, v25, v110
	v_lshrrev_b32_e32 v110, 8, v19
	v_cvt_f16_i16_sdwa v19, sext(v19) dst_sel:DWORD dst_unused:UNUSED_PAD src0_sel:BYTE_0
	v_pk_mul_f16 v25, v25, v108
	v_cvt_f16_i16_sdwa v110, sext(v110) dst_sel:DWORD dst_unused:UNUSED_PAD src0_sel:BYTE_0
	v_pack_b32_f16 v19, v19, v110
	v_pk_mul_f16 v19, v19, v108
	v_ashrrev_i32_e32 v108, v105, v109
	v_and_b32_e32 v108, 0xf0f0f0f, v108
	v_lshlrev_b16 v109, 8, v108
	v_and_b32_e32 v110, 0xf00, v108
	v_lshrrev_b32_e32 v108, 16, v108
	v_add_nc_u16 v109, 0xf800, v109
	v_or_b32_sdwa v109, v110, v109 dst_sel:DWORD dst_unused:UNUSED_PAD src0_sel:DWORD src1_sel:BYTE_1
	v_lshlrev_b16 v110, 8, v108
	v_and_b32_e32 v108, 0xf00, v108
	v_add_nc_u16 v109, 0xf800, v109
	v_add_nc_u16 v110, 0xf800, v110
	v_or_b32_sdwa v108, v108, v110 dst_sel:DWORD dst_unused:UNUSED_PAD src0_sel:DWORD src1_sel:BYTE_1
	v_lshrrev_b32_e32 v110, 8, v109
	v_cvt_f16_i16_sdwa v109, sext(v109) dst_sel:DWORD dst_unused:UNUSED_PAD src0_sel:BYTE_0
	v_add_nc_u16 v108, 0xf800, v108
	v_cvt_f16_i16_sdwa v110, sext(v110) dst_sel:DWORD dst_unused:UNUSED_PAD src0_sel:BYTE_0
	v_pack_b32_f16 v109, v109, v110
	v_lshrrev_b32_e32 v110, 8, v108
	v_cvt_f16_i16_sdwa v108, sext(v108) dst_sel:DWORD dst_unused:UNUSED_PAD src0_sel:BYTE_0
	v_pk_mul_f16 v109, v109, v18
	v_cvt_f16_i16_sdwa v110, sext(v110) dst_sel:DWORD dst_unused:UNUSED_PAD src0_sel:BYTE_0
	v_pk_fma_f16 v109, v109, v166, v24
	v_pack_b32_f16 v108, v108, v110
	v_pk_fma_f16 v110, v19, v166, v23
	v_pk_mul_f16 v18, v108, v18
	v_pk_fma_f16 v108, v25, v166, v22
	v_pk_fma_f16 v25, v18, v166, v20
	s_clause 0x1
	buffer_load_dword v166, off, s[96:99], 0 offset:292
	buffer_load_dword v18, off, s[96:99], 0 offset:8
	v_mov_b32_e32 v20, v170
	v_mov_b32_e32 v170, v174
	;; [unrolled: 1-line block ×15, first 2 shown]
	s_waitcnt vmcnt(1)
	v_add_co_u32 v166, vcc_lo, v166, s10
	s_waitcnt vmcnt(0)
	v_add_co_ci_u32_e64 v18, null, 0, v18, vcc_lo
	buffer_store_dword v18, off, s[96:99], 0 offset:8 ; 4-byte Folded Spill
	s_clause 0x1
	buffer_load_dword v18, off, s[96:99], 0
	buffer_load_dword v19, off, s[96:99], 0 offset:4
	s_waitcnt vmcnt(1)
	v_add_co_u32 v18, vcc_lo, v18, s2
	s_waitcnt vmcnt(0)
	v_add_co_ci_u32_e64 v19, null, s3, v19, vcc_lo
	buffer_store_dword v18, off, s[96:99], 0 ; 4-byte Folded Spill
	buffer_store_dword v19, off, s[96:99], 0 offset:4 ; 4-byte Folded Spill
	s_clause 0x1
	buffer_load_dword v18, off, s[96:99], 0 offset:12
	buffer_load_dword v19, off, s[96:99], 0 offset:340
	v_add_co_u32 v107, vcc_lo, v107, s11
	v_add_co_ci_u32_e64 v158, null, 0, v158, vcc_lo
	v_add_co_u32 v159, vcc_lo, v159, s11
	v_add_co_ci_u32_e64 v160, null, 0, v160, vcc_lo
	;; [unrolled: 2-line block ×5, first 2 shown]
	s_clause 0x1
	buffer_load_dword v22, off, s[96:99], 0 offset:400
	buffer_load_dword v23, off, s[96:99], 0 offset:404
	s_waitcnt vmcnt(3)
	v_add_co_u32 v18, vcc_lo, v18, s10
	buffer_store_dword v18, off, s[96:99], 0 offset:12 ; 4-byte Folded Spill
	buffer_load_dword v18, off, s[96:99], 0 offset:16 ; 4-byte Folded Reload
	s_waitcnt vmcnt(0)
	v_add_co_ci_u32_e64 v18, null, 0, v18, vcc_lo
	buffer_store_dword v18, off, s[96:99], 0 offset:16 ; 4-byte Folded Spill
	buffer_load_dword v18, off, s[96:99], 0 offset:336 ; 4-byte Folded Reload
	s_waitcnt vmcnt(0)
	v_add_co_u32 v18, vcc_lo, v18, s10
	v_add_co_ci_u32_e64 v19, null, 0, v19, vcc_lo
	v_add_co_u32 v165, vcc_lo, v165, s11
	v_add_co_ci_u32_e64 v2, null, 0, v2, vcc_lo
	;; [unrolled: 2-line block ×34, first 2 shown]
	v_add_co_u32 v188, vcc_lo, v188, s11
	buffer_store_dword v167, off, s[96:99], 0 offset:156 ; 4-byte Folded Spill
	v_mov_b32_e32 v167, v224
	v_add_co_ci_u32_e64 v146, null, 0, v146, vcc_lo
	v_add_co_u32 v189, vcc_lo, v189, s11
	v_add_co_ci_u32_e64 v192, null, 0, v192, vcc_lo
	v_add_co_u32 v148, vcc_lo, v148, s11
	;; [unrolled: 2-line block ×12, first 2 shown]
	v_add_co_ci_u32_e64 v212, null, 0, v212, vcc_lo
	v_mov_b32_e32 v224, v225
	buffer_store_dword v211, off, s[96:99], 0 offset:288 ; 4-byte Folded Spill
	v_add_co_u32 v211, vcc_lo, v214, s11
	v_add_co_ci_u32_e64 v213, null, 0, v213, vcc_lo
	v_add_co_u32 v215, vcc_lo, v215, s11
	v_add_co_ci_u32_e64 v209, null, 0, v209, vcc_lo
	v_add_co_u32 v214, vcc_lo, v218, s11
	v_add_co_ci_u32_e64 v216, null, 0, v216, vcc_lo
	v_add_co_u32 v219, vcc_lo, v219, s11
	v_mov_b32_e32 v225, v226
	v_add_co_ci_u32_e64 v220, null, 0, v220, vcc_lo
	v_add_co_u32 v218, vcc_lo, v222, s11
	v_mov_b32_e32 v226, v233
	v_add_co_ci_u32_e64 v221, null, 0, v221, vcc_lo
	v_add_co_u32 v223, vcc_lo, v223, s11
	v_add_co_ci_u32_e64 v224, null, 0, v224, vcc_lo
	v_add_co_u32 v225, vcc_lo, v225, s11
	;; [unrolled: 2-line block ×3, first 2 shown]
	v_mov_b32_e32 v233, v62
	v_add_co_ci_u32_e64 v217, null, 0, v217, vcc_lo
	v_add_co_u32 v228, vcc_lo, v230, s11
	v_add_co_ci_u32_e64 v227, null, 0, v227, vcc_lo
	v_add_co_u32 v231, vcc_lo, v231, s11
	;; [unrolled: 2-line block ×12, first 2 shown]
	v_mov_b32_e32 v62, v64
	v_mov_b32_e32 v64, v60
	v_add_co_ci_u32_e64 v252, null, 0, v252, vcc_lo
	v_add_co_u32 v250, vcc_lo, v254, s11
	v_mov_b32_e32 v60, v1
	v_add_co_ci_u32_e64 v253, null, 0, v253, vcc_lo
	v_add_co_u32 v255, vcc_lo, v255, s11
	v_add_co_ci_u32_e64 v62, null, 0, v62, vcc_lo
	v_add_co_u32 v64, vcc_lo, v64, s11
	v_add_co_ci_u32_e64 v60, null, 0, v60, vcc_lo
	v_add_co_u32 v229, vcc_lo, v229, s11
	v_add_co_ci_u32_e64 v254, null, 0, v63, vcc_lo
	v_add_co_u32 v63, vcc_lo, v61, s11
	buffer_store_dword v168, off, s[96:99], 0 offset:160 ; 4-byte Folded Spill
	buffer_store_dword v66, off, s[96:99], 0 offset:172 ; 4-byte Folded Spill
	v_add_co_ci_u32_e64 v168, null, 0, v172, vcc_lo
	v_add_co_u32 v66, vcc_lo, v67, s11
	buffer_store_dword v173, off, s[96:99], 0 offset:168 ; 4-byte Folded Spill
	v_add_co_ci_u32_e64 v173, null, 0, v171, vcc_lo
	v_mov_b32_e32 v171, v34
	buffer_store_dword v68, off, s[96:99], 0 offset:176 ; 4-byte Folded Spill
	buffer_store_dword v169, off, s[96:99], 0 offset:164 ; 4-byte Folded Spill
	;; [unrolled: 1-line block ×4, first 2 shown]
	v_add_co_u32 v171, vcc_lo, v171, s11
	v_add_co_ci_u32_e64 v67, null, 0, v65, vcc_lo
	v_add_co_u32 v68, vcc_lo, v26, s11
	v_add_co_ci_u32_e64 v69, null, 0, v69, vcc_lo
	v_add_co_u32 v172, vcc_lo, v28, s11
	buffer_store_dword v182, off, s[96:99], 0 offset:184 ; 4-byte Folded Spill
	buffer_store_dword v144, off, s[96:99], 0 offset:188 ; 4-byte Folded Spill
	;; [unrolled: 1-line block ×25, first 2 shown]
	v_mov_b32_e32 v34, v37
	v_mov_b32_e32 v37, v44
	;; [unrolled: 1-line block ×8, first 2 shown]
	s_clause 0x2
	buffer_load_dword v71, off, s[96:99], 0 offset:312
	buffer_load_dword v76, off, s[96:99], 0 offset:344
	;; [unrolled: 1-line block ×3, first 2 shown]
	v_add_co_ci_u32_e64 v61, null, 0, v29, vcc_lo
	v_add_co_u32 v65, vcc_lo, v30, s11
	v_mov_b32_e32 v29, v73
	buffer_load_dword v73, off, s[96:99], 0 offset:304 ; 4-byte Folded Reload
	v_mov_b32_e32 v30, v74
	v_mov_b32_e32 v74, v75
	buffer_load_dword v75, off, s[96:99], 0 offset:300 ; 4-byte Folded Reload
	v_add_co_ci_u32_e64 v27, null, 0, v27, vcc_lo
	v_add_co_u32 v31, vcc_lo, v31, s11
	v_add_co_ci_u32_e64 v32, null, 0, v32, vcc_lo
	v_add_co_u32 v33, vcc_lo, v33, s11
	;; [unrolled: 2-line block ×7, first 2 shown]
	v_mov_b32_e32 v1, v54
	v_add_co_ci_u32_e64 v44, null, 0, v44, vcc_lo
	v_add_co_u32 v45, vcc_lo, v45, s11
	v_add_co_ci_u32_e64 v46, null, 0, v46, vcc_lo
	v_add_co_u32 v47, vcc_lo, v47, s11
	;; [unrolled: 2-line block ×6, first 2 shown]
	v_add_co_ci_u32_e64 v54, null, 0, v57, vcc_lo
	buffer_load_dword v57, off, s[96:99], 0 offset:296 ; 4-byte Folded Reload
	v_add_co_u32 v56, vcc_lo, v56, s11
	v_add_co_ci_u32_e64 v28, null, 0, v28, vcc_lo
	v_add_co_u32 v129, vcc_lo, v129, s11
	v_mov_b32_e32 v192, v147
	s_waitcnt vmcnt(5)
	v_add_co_ci_u32_e64 v71, null, 0, v71, vcc_lo
	v_add_co_u32 v29, vcc_lo, v29, s11
	v_add_co_ci_u32_e64 v30, null, 0, v30, vcc_lo
	v_add_co_u32 v74, vcc_lo, v74, s11
	s_waitcnt vmcnt(1)
	v_add_co_ci_u32_e64 v75, null, 0, v75, vcc_lo
	v_add_co_u32 v70, vcc_lo, v70, s11
	v_add_co_ci_u32_e64 v77, null, 0, v77, vcc_lo
	v_add_co_u32 v78, vcc_lo, v78, s11
	;; [unrolled: 2-line block ×13, first 2 shown]
	s_waitcnt vmcnt(0)
	v_add_co_ci_u32_e64 v57, null, 0, v57, vcc_lo
	v_add_co_u32 v102, vcc_lo, v102, s11
	v_add_co_ci_u32_e64 v103, null, 0, v103, vcc_lo
	v_add_co_u32 v72, vcc_lo, v72, s11
	;; [unrolled: 2-line block ×6, first 2 shown]
	buffer_load_dword v184, off, s[96:99], 0 offset:316 ; 4-byte Folded Reload
	v_add_co_ci_u32_e64 v182, null, 0, v186, vcc_lo
	buffer_load_dword v186, off, s[96:99], 0 offset:320 ; 4-byte Folded Reload
	s_waitcnt vmcnt(1)
	v_add_co_u32 v184, vcc_lo, v184, s11
	s_waitcnt vmcnt(0)
	v_add_co_ci_u32_e64 v186, null, 0, v186, vcc_lo
	v_add_co_u32 v183, vcc_lo, v185, s11
	buffer_load_dword v185, off, s[96:99], 0 offset:324 ; 4-byte Folded Reload
	v_add_co_ci_u32_e64 v188, null, 0, v191, vcc_lo
	buffer_load_dword v191, off, s[96:99], 0 offset:332 ; 4-byte Folded Reload
	s_waitcnt vmcnt(1)
	v_add_co_u32 v185, vcc_lo, v185, s11
	s_waitcnt vmcnt(0)
	v_add_co_ci_u32_e64 v191, null, 0, v191, vcc_lo
	v_add_co_u32 v192, vcc_lo, v192, s11
	v_add_co_ci_u32_e64 v187, null, 0, v190, vcc_lo
	buffer_load_dword v190, off, s[96:99], 0 offset:348 ; 4-byte Folded Reload
	s_waitcnt vmcnt(0)
	v_add_co_u32 v190, vcc_lo, v190, s11
	v_add_co_ci_u32_e64 v194, null, 0, v195, vcc_lo
	buffer_load_dword v195, off, s[96:99], 0 offset:352 ; 4-byte Folded Reload
	v_add_co_u32 v196, vcc_lo, v198, s11
	buffer_load_dword v198, off, s[96:99], 0 offset:360 ; 4-byte Folded Reload
	v_add_co_ci_u32_e64 v199, null, 0, v197, vcc_lo
	buffer_load_dword v197, off, s[96:99], 0 offset:356 ; 4-byte Folded Reload
	s_waitcnt vmcnt(2)
	v_add_co_u32 v195, vcc_lo, v195, s11
	s_waitcnt vmcnt(0)
	v_add_co_ci_u32_e64 v197, null, 0, v197, vcc_lo
	v_add_co_u32 v198, vcc_lo, v198, s11
	v_add_co_ci_u32_e64 v202, null, 0, v200, vcc_lo
	buffer_load_dword v200, off, s[96:99], 0 offset:364 ; 4-byte Folded Reload
	s_waitcnt vmcnt(0)
	v_add_co_u32 v200, vcc_lo, v200, s11
	v_add_co_ci_u32_e64 v203, null, 0, v204, vcc_lo
	v_add_co_u32 v206, vcc_lo, v205, s11
	s_clause 0x1
	buffer_load_dword v204, off, s[96:99], 0 offset:376
	buffer_load_dword v205, off, s[96:99], 0 offset:380
	v_add_co_ci_u32_e64 v207, null, 0, v201, vcc_lo
	buffer_load_dword v201, off, s[96:99], 0 offset:372 ; 4-byte Folded Reload
	s_waitcnt vmcnt(0)
	v_add_co_u32 v201, vcc_lo, v201, s11
	v_add_co_ci_u32_e64 v204, null, 0, v204, vcc_lo
	v_add_co_u32 v205, vcc_lo, v205, s11
	v_add_co_ci_u32_e64 v210, null, 0, v208, vcc_lo
	s_cbranch_scc1 .LBB23_23
; %bb.21:                               ;   in Loop: Header=BB23_15 Depth=1
	buffer_store_dword v110, off, s[96:99], 0 offset:540 ; 4-byte Folded Spill
	buffer_store_dword v109, off, s[96:99], 0 offset:536 ; 4-byte Folded Spill
	buffer_store_dword v108, off, s[96:99], 0 offset:544 ; 4-byte Folded Spill
	buffer_store_dword v25, off, s[96:99], 0 offset:532 ; 4-byte Folded Spill
	buffer_store_dword v141, off, s[96:99], 0 offset:520 ; 4-byte Folded Spill
	buffer_store_dword v140, off, s[96:99], 0 offset:516 ; 4-byte Folded Spill
	buffer_store_dword v139, off, s[96:99], 0 offset:512 ; 4-byte Folded Spill
	buffer_store_dword v138, off, s[96:99], 0 offset:508 ; 4-byte Folded Spill
	buffer_store_dword v137, off, s[96:99], 0 offset:504 ; 4-byte Folded Spill
	buffer_store_dword v136, off, s[96:99], 0 offset:500 ; 4-byte Folded Spill
	buffer_store_dword v135, off, s[96:99], 0 offset:496 ; 4-byte Folded Spill
	buffer_store_dword v134, off, s[96:99], 0 offset:492 ; 4-byte Folded Spill
	buffer_store_dword v133, off, s[96:99], 0 offset:488 ; 4-byte Folded Spill
	buffer_store_dword v132, off, s[96:99], 0 offset:484 ; 4-byte Folded Spill
	buffer_store_dword v131, off, s[96:99], 0 offset:480 ; 4-byte Folded Spill
	buffer_store_dword v130, off, s[96:99], 0 offset:476 ; 4-byte Folded Spill
	buffer_store_dword v128, off, s[96:99], 0 offset:472 ; 4-byte Folded Spill
	buffer_store_dword v127, off, s[96:99], 0 offset:468 ; 4-byte Folded Spill
	buffer_store_dword v126, off, s[96:99], 0 offset:464 ; 4-byte Folded Spill
	buffer_store_dword v125, off, s[96:99], 0 offset:460 ; 4-byte Folded Spill
	buffer_store_dword v124, off, s[96:99], 0 offset:456 ; 4-byte Folded Spill
	buffer_store_dword v122, off, s[96:99], 0 offset:452 ; 4-byte Folded Spill
	buffer_store_dword v121, off, s[96:99], 0 offset:448 ; 4-byte Folded Spill
	buffer_store_dword v120, off, s[96:99], 0 offset:444 ; 4-byte Folded Spill
	buffer_store_dword v119, off, s[96:99], 0 offset:440 ; 4-byte Folded Spill
	buffer_store_dword v118, off, s[96:99], 0 offset:436 ; 4-byte Folded Spill
	buffer_store_dword v117, off, s[96:99], 0 offset:432 ; 4-byte Folded Spill
	buffer_store_dword v116, off, s[96:99], 0 offset:428 ; 4-byte Folded Spill
	buffer_store_dword v115, off, s[96:99], 0 offset:424 ; 4-byte Folded Spill
	buffer_store_dword v114, off, s[96:99], 0 offset:420 ; 4-byte Folded Spill
	buffer_store_dword v113, off, s[96:99], 0 offset:416 ; 4-byte Folded Spill
	buffer_store_dword v112, off, s[96:99], 0 offset:412 ; 4-byte Folded Spill
	buffer_store_dword v111, off, s[96:99], 0 offset:408 ; 4-byte Folded Spill
	buffer_store_dword v13, off, s[96:99], 0 offset:396 ; 4-byte Folded Spill
	buffer_store_dword v12, off, s[96:99], 0 offset:392 ; 4-byte Folded Spill
	buffer_store_dword v11, off, s[96:99], 0 offset:388 ; 4-byte Folded Spill
	buffer_store_dword v7, off, s[96:99], 0 offset:384 ; 4-byte Folded Spill
	buffer_store_dword v10, off, s[96:99], 0 offset:380 ; 4-byte Folded Spill
	buffer_store_dword v9, off, s[96:99], 0 offset:376 ; 4-byte Folded Spill
	buffer_store_dword v8, off, s[96:99], 0 offset:372 ; 4-byte Folded Spill
	buffer_store_dword v142, off, s[96:99], 0 offset:368 ; 4-byte Folded Spill
	buffer_store_dword v6, off, s[96:99], 0 offset:364 ; 4-byte Folded Spill
	buffer_store_dword v5, off, s[96:99], 0 offset:360 ; 4-byte Folded Spill
	buffer_store_dword v4, off, s[96:99], 0 offset:356 ; 4-byte Folded Spill
	buffer_store_dword v3, off, s[96:99], 0 offset:352 ; 4-byte Folded Spill
	buffer_store_dword v2, off, s[96:99], 0 offset:348 ; 4-byte Folded Spill
	buffer_store_dword v165, off, s[96:99], 0 offset:344 ; 4-byte Folded Spill
	buffer_store_dword v21, off, s[96:99], 0 offset:332 ; 4-byte Folded Spill
	buffer_store_dword v143, off, s[96:99], 0 offset:328 ; 4-byte Folded Spill
	buffer_store_dword v164, off, s[96:99], 0 offset:324 ; 4-byte Folded Spill
	buffer_store_dword v163, off, s[96:99], 0 offset:320 ; 4-byte Folded Spill
	buffer_store_dword v162, off, s[96:99], 0 offset:316 ; 4-byte Folded Spill
	buffer_store_dword v161, off, s[96:99], 0 offset:312 ; 4-byte Folded Spill
	buffer_store_dword v160, off, s[96:99], 0 offset:308 ; 4-byte Folded Spill
	buffer_store_dword v159, off, s[96:99], 0 offset:304 ; 4-byte Folded Spill
	buffer_store_dword v158, off, s[96:99], 0 offset:300 ; 4-byte Folded Spill
	buffer_store_dword v107, off, s[96:99], 0 offset:296 ; 4-byte Folded Spill
	s_clause 0xc
	buffer_load_dword v208, off, s[96:99], 0 offset:528
	buffer_load_dword v2, off, s[96:99], 0 offset:576
	;; [unrolled: 1-line block ×13, first 2 shown]
	s_branch .LBB23_15
.LBB23_22:
	v_mov_b32_e32 v108, 0
	v_mov_b32_e32 v9, 0xfeffffff
	;; [unrolled: 1-line block ×5, first 2 shown]
	s_branch .LBB23_24
.LBB23_23:
	s_clause 0x5
	buffer_load_dword v32, off, s[96:99], 0 offset:628
	buffer_load_dword v33, off, s[96:99], 0 offset:624
	;; [unrolled: 1-line block ×6, first 2 shown]
	v_mbcnt_lo_u32_b32 v34, -1, 0
.LBB23_24:
	s_waitcnt vmcnt(5)
	v_or_b32_e32 v0, s7, v32
	s_cmp_lg_u64 s[68:69], 0
	s_cselect_b32 s1, -1, 0
	v_cmp_eq_u32_e32 vcc_lo, 0, v0
	s_and_b32 s2, vcc_lo, s1
	s_and_saveexec_b32 s1, s2
	s_cbranch_execz .LBB23_26
; %bb.25:
	s_lshl_b64 s[2:3], s[82:83], 2
	s_waitcnt vmcnt(0)
	v_max_f32_e32 v0, v9, v9
	s_add_u32 s2, s68, s2
	s_addc_u32 s3, s69, s3
	s_load_dword s2, s[2:3], 0x0
	s_waitcnt lgkmcnt(0)
	v_max_f32_e64 v1, s2, s2
	v_max_f32_e32 v0, v0, v1
	v_sub_f32_e32 v1, v9, v0
	v_sub_f32_e32 v2, s2, v0
	v_mov_b32_e32 v9, v0
	v_mul_f32_e32 v3, 0x3fb8aa3b, v1
	v_mul_f32_e32 v4, 0x3fb8aa3b, v2
	v_cmp_ngt_f32_e32 vcc_lo, 0xc2ce8ed0, v1
	v_fma_f32 v5, 0x3fb8aa3b, v1, -v3
	v_rndne_f32_e32 v6, v3
	v_fma_f32 v7, 0x3fb8aa3b, v2, -v4
	v_rndne_f32_e32 v8, v4
	v_fmac_f32_e32 v5, 0x32a5705f, v1
	v_sub_f32_e32 v3, v3, v6
	v_fmac_f32_e32 v7, 0x32a5705f, v2
	v_sub_f32_e32 v4, v4, v8
	v_add_f32_e32 v3, v3, v5
	v_cvt_i32_f32_e32 v5, v6
	v_add_f32_e32 v4, v4, v7
	v_cvt_i32_f32_e32 v6, v8
	v_exp_f32_e32 v3, v3
	v_exp_f32_e32 v4, v4
	v_ldexp_f32 v3, v3, v5
	v_ldexp_f32 v4, v4, v6
	v_cndmask_b32_e32 v3, 0, v3, vcc_lo
	v_cmp_ngt_f32_e32 vcc_lo, 0xc2ce8ed0, v2
	v_cndmask_b32_e32 v4, 0, v4, vcc_lo
	v_cmp_nlt_f32_e32 vcc_lo, 0x42b17218, v1
	v_cndmask_b32_e32 v1, 0x7f800000, v3, vcc_lo
	v_cmp_nlt_f32_e32 vcc_lo, 0x42b17218, v2
	v_mov_b32_e32 v3, 0x10001
	v_cndmask_b32_e32 v2, 0x7f800000, v4, vcc_lo
	v_cmp_eq_u32_e32 vcc_lo, 0, v33
	v_cvt_f16_f32_e32 v4, v1
	v_cndmask_b32_e32 v2, 0, v2, vcc_lo
	v_mul_u32_u24_sdwa v3, v4, v3 dst_sel:DWORD dst_unused:UNUSED_PAD src0_sel:WORD_0 src1_sel:DWORD
	v_fmac_f32_e32 v2, v21, v1
	v_pk_mul_f16 v108, v108, v3
	v_pk_mul_f16 v110, v110, v3
	;; [unrolled: 1-line block ×4, first 2 shown]
	v_mov_b32_e32 v21, v2
.LBB23_26:
	s_or_b32 exec_lo, exec_lo, s1
	s_and_saveexec_b32 s1, s0
	s_cbranch_execz .LBB23_28
; %bb.27:
	v_mov_b32_e32 v0, 0xfeffffff
	v_mov_b32_e32 v1, 0
	s_waitcnt vmcnt(2)
	v_add_nc_u32_e32 v2, 0x800, v20
	ds_write2_b32 v2, v0, v1 offset1:32
.LBB23_28:
	s_or_b32 exec_lo, exec_lo, s1
	s_waitcnt vmcnt(4)
	v_cmp_eq_u32_e32 vcc_lo, 0, v33
	v_lshlrev_b32_e32 v1, 2, v32
	s_waitcnt vmcnt(0) lgkmcnt(0)
	s_waitcnt_vscnt null, 0x0
	s_barrier
	buffer_gl0_inv
	s_and_saveexec_b32 s0, vcc_lo
; %bb.29:
	ds_write_b32 v1, v9 offset:2048
; %bb.30:
	s_or_b32 exec_lo, exec_lo, s0
	s_waitcnt lgkmcnt(0)
	s_barrier
	buffer_gl0_inv
	ds_read_b32 v0, v20 offset:2048
	v_xor_b32_e32 v2, 16, v34
	v_xor_b32_e32 v4, 8, v34
	;; [unrolled: 1-line block ×5, first 2 shown]
	v_cmp_gt_i32_e64 s0, 32, v2
	s_load_dword s1, s[4:5], 0xd4
	v_lshlrev_b32_e32 v13, 3, v33
	v_cndmask_b32_e64 v2, v34, v2, s0
	v_cmp_gt_i32_e64 s0, 32, v4
	v_lshl_add_u32 v13, v32, 9, v13
	v_lshlrev_b32_e32 v3, 2, v2
	v_cndmask_b32_e64 v4, v34, v4, s0
	v_cmp_gt_i32_e64 s0, 32, v5
	s_waitcnt lgkmcnt(0)
	ds_bpermute_b32 v2, v3, v0
	v_max_f32_e32 v0, v0, v0
	v_lshlrev_b32_e32 v4, 2, v4
	v_cndmask_b32_e64 v5, v34, v5, s0
	v_cmp_gt_i32_e64 s0, 32, v6
	v_lshlrev_b32_e32 v5, 2, v5
	v_cndmask_b32_e64 v6, v34, v6, s0
	v_cmp_gt_i32_e64 s0, 32, v7
	v_lshlrev_b32_e32 v6, 2, v6
	v_cndmask_b32_e64 v7, v34, v7, s0
	s_waitcnt lgkmcnt(0)
	v_max_f32_e32 v2, v2, v2
	v_max_f32_e32 v0, v0, v2
	ds_bpermute_b32 v2, v4, v0
	s_waitcnt lgkmcnt(0)
	v_max_f32_e32 v2, v2, v2
	v_max_f32_e32 v0, v0, v2
	ds_bpermute_b32 v2, v5, v0
	;; [unrolled: 4-line block ×3, first 2 shown]
	s_waitcnt lgkmcnt(0)
	v_max_f32_e32 v8, v0, v0
	v_lshlrev_b32_e32 v0, 2, v7
	v_max_f32_e32 v2, v2, v8
	ds_bpermute_b32 v7, v0, v2
	s_waitcnt lgkmcnt(0)
	v_max_f32_e32 v7, v7, v7
	v_max_f32_e32 v2, v2, v7
	v_sub_f32_e32 v7, v9, v2
	v_mul_f32_e32 v8, 0x3fb8aa3b, v7
	v_cmp_ngt_f32_e64 s0, 0xc2ce8ed0, v7
	v_fma_f32 v9, 0x3fb8aa3b, v7, -v8
	v_rndne_f32_e32 v10, v8
	v_fmamk_f32 v9, v7, 0x32a5705f, v9
	v_sub_f32_e32 v8, v8, v10
	v_add_f32_e32 v8, v8, v9
	v_cvt_i32_f32_e32 v9, v10
	v_mov_b32_e32 v10, 0x10001
	v_exp_f32_e32 v8, v8
	v_ldexp_f32 v8, v8, v9
	v_cndmask_b32_e64 v8, 0, v8, s0
	v_cmp_nlt_f32_e64 s0, 0x42b17218, v7
	v_cndmask_b32_e64 v8, 0x7f800000, v8, s0
	v_mul_f32_e32 v7, v21, v8
	ds_bpermute_b32 v7, v3, v7
	s_waitcnt lgkmcnt(0)
	v_fmac_f32_e32 v7, v21, v8
	ds_bpermute_b32 v9, v4, v7
	s_waitcnt lgkmcnt(0)
	v_add_f32_e32 v7, v7, v9
	ds_bpermute_b32 v9, v5, v7
	s_waitcnt lgkmcnt(0)
	v_add_f32_e32 v7, v7, v9
	;; [unrolled: 3-line block ×3, first 2 shown]
	v_cvt_f16_f32_e32 v9, v8
	ds_bpermute_b32 v8, v0, v7
	v_mul_u32_u24_sdwa v12, v9, v10 dst_sel:DWORD dst_unused:UNUSED_PAD src0_sel:WORD_0 src1_sel:DWORD
	v_pk_mul_f16 v9, v108, v12
	v_pk_mul_f16 v10, v110, v12
	;; [unrolled: 1-line block ×4, first 2 shown]
	ds_write2_b64 v13, v[9:10], v[11:12] offset1:32
	s_and_saveexec_b32 s0, vcc_lo
	s_cbranch_execz .LBB23_32
; %bb.31:
	s_waitcnt lgkmcnt(1)
	v_add_f32_e32 v7, v7, v8
	ds_write_b32 v1, v7 offset:2176
.LBB23_32:
	s_or_b32 exec_lo, exec_lo, s0
	s_waitcnt lgkmcnt(0)
	s_barrier
	buffer_gl0_inv
	buffer_load_dword v11, off, s[96:99], 0 offset:552 ; 4-byte Folded Reload
	ds_read_b32 v1, v20 offset:2176
	s_mul_i32 s2, s90, s80
	s_mov_b32 s3, 0
	s_add_i32 s2, s2, s6
	s_mul_i32 s2, s2, s81
	s_add_i32 s2, s2, s82
	s_mul_i32 s2, s1, s2
	s_add_i32 s2, s2, s7
	s_cmp_eq_u32 s1, 1
	s_waitcnt lgkmcnt(0)
	ds_bpermute_b32 v3, v3, v1
	s_waitcnt lgkmcnt(0)
	v_add_f32_e32 v1, v1, v3
	ds_bpermute_b32 v3, v4, v1
	s_waitcnt lgkmcnt(0)
	v_add_f32_e32 v1, v1, v3
	;; [unrolled: 3-line block ×3, first 2 shown]
	ds_bpermute_b32 v3, v6, v1
	s_waitcnt vmcnt(0)
	ds_read_u16 v4, v11
	ds_read_u16 v5, v11 offset:1792
	ds_read_u16 v6, v11 offset:1280
	;; [unrolled: 1-line block ×7, first 2 shown]
	s_waitcnt lgkmcnt(8)
	v_add_f32_e32 v1, v1, v3
	ds_bpermute_b32 v0, v0, v1
	s_waitcnt lgkmcnt(8)
	v_cvt_f32_f16_e32 v3, v4
	s_waitcnt lgkmcnt(7)
	v_cvt_f32_f16_e32 v5, v5
	;; [unrolled: 2-line block ×6, first 2 shown]
	v_add_f32_e32 v3, 0, v3
	s_waitcnt lgkmcnt(2)
	v_cvt_f32_f16_e32 v9, v10
	v_add_f32_e32 v4, 0, v4
	v_add_f32_e32 v3, v3, v8
	;; [unrolled: 1-line block ×3, first 2 shown]
	s_waitcnt lgkmcnt(1)
	v_cvt_f32_f16_e32 v7, v11
	v_add_f32_e32 v3, v3, v9
	v_add_f32_e32 v4, v4, v6
	;; [unrolled: 1-line block ×3, first 2 shown]
	s_waitcnt lgkmcnt(0)
	v_add_f32_e32 v3, v1, v0
	v_add_f32_e32 v7, v4, v5
	v_div_scale_f32 v0, null, v3, v3, v6
	v_div_scale_f32 v4, null, v3, v3, v7
	v_div_scale_f32 v10, vcc_lo, v6, v3, v6
	v_rcp_f32_e32 v5, v0
	v_rcp_f32_e32 v8, v4
	v_div_scale_f32 v11, s0, v7, v3, v7
	v_fma_f32 v1, -v0, v5, 1.0
	v_fma_f32 v9, -v4, v8, 1.0
	v_fmac_f32_e32 v5, v1, v5
	v_fmac_f32_e32 v8, v9, v8
	v_mul_f32_e32 v9, v10, v5
	v_mul_f32_e32 v12, v11, v8
	v_fma_f32 v1, -v0, v9, v10
	v_fma_f32 v13, -v4, v12, v11
	v_fmac_f32_e32 v9, v1, v5
	v_fmac_f32_e32 v12, v13, v8
	v_mov_b32_e32 v1, 0
	v_fma_f32 v10, -v0, v9, v10
	v_lshl_or_b32 v0, s2, 8, v19
	v_fma_f32 v4, -v4, v12, v11
	v_div_fmas_f32 v9, v10, v5, v9
	s_mov_b32 vcc_lo, s0
	v_div_fmas_f32 v8, v4, v8, v12
	v_lshlrev_b64 v[4:5], 2, v[0:1]
	v_div_fixup_f32 v0, v9, v3, v6
	v_cmp_eq_u32_e32 vcc_lo, 0, v19
	v_div_fixup_f32 v8, v8, v3, v7
	v_add_co_u32 v4, s0, s72, v4
	v_add_co_ci_u32_e64 v5, null, s73, v5, s0
	s_cselect_b32 s0, -1, 0
	s_cmp_lg_u32 s1, 1
	v_cndmask_b32_e64 v0, v6, v0, s0
	v_cndmask_b32_e64 v6, v7, v8, s0
	s_cselect_b32 s0, -1, 0
	s_and_b32 s0, vcc_lo, s0
	global_store_dword v[4:5], v0, off
	global_store_dword v[4:5], v6, off offset:512
	s_and_saveexec_b32 s1, s0
	s_cbranch_execz .LBB23_34
; %bb.33:
	s_lshl_b64 s[0:1], s[2:3], 3
	s_add_u32 s0, s74, s0
	s_addc_u32 s1, s75, s1
	global_store_dwordx2 v1, v[2:3], s[0:1]
.LBB23_34:
	s_endpgm
	.section	.rodata,"a",@progbits
	.p2align	6, 0x0
	.amdhsa_kernel _ZL18flash_attn_ext_vecILi256ELi1EL9ggml_type2ELS0_2ELb0EEvPKcS2_S2_S2_S2_PKiPfP15HIP_vector_typeIfLj2EEffffjfiS6_IjLj3EEiiiiiiiiiiiliiliiiiil
		.amdhsa_group_segment_fixed_size 2304
		.amdhsa_private_segment_fixed_size 644
		.amdhsa_kernarg_size 464
		.amdhsa_user_sgpr_count 6
		.amdhsa_user_sgpr_private_segment_buffer 1
		.amdhsa_user_sgpr_dispatch_ptr 0
		.amdhsa_user_sgpr_queue_ptr 0
		.amdhsa_user_sgpr_kernarg_segment_ptr 1
		.amdhsa_user_sgpr_dispatch_id 0
		.amdhsa_user_sgpr_flat_scratch_init 0
		.amdhsa_user_sgpr_private_segment_size 0
		.amdhsa_wavefront_size32 1
		.amdhsa_uses_dynamic_stack 0
		.amdhsa_system_sgpr_private_segment_wavefront_offset 1
		.amdhsa_system_sgpr_workgroup_id_x 1
		.amdhsa_system_sgpr_workgroup_id_y 1
		.amdhsa_system_sgpr_workgroup_id_z 1
		.amdhsa_system_sgpr_workgroup_info 0
		.amdhsa_system_vgpr_workitem_id 1
		.amdhsa_next_free_vgpr 256
		.amdhsa_next_free_sgpr 100
		.amdhsa_reserve_vcc 1
		.amdhsa_reserve_flat_scratch 0
		.amdhsa_float_round_mode_32 0
		.amdhsa_float_round_mode_16_64 0
		.amdhsa_float_denorm_mode_32 3
		.amdhsa_float_denorm_mode_16_64 3
		.amdhsa_dx10_clamp 1
		.amdhsa_ieee_mode 1
		.amdhsa_fp16_overflow 0
		.amdhsa_workgroup_processor_mode 1
		.amdhsa_memory_ordered 1
		.amdhsa_forward_progress 1
		.amdhsa_shared_vgpr_count 0
		.amdhsa_exception_fp_ieee_invalid_op 0
		.amdhsa_exception_fp_denorm_src 0
		.amdhsa_exception_fp_ieee_div_zero 0
		.amdhsa_exception_fp_ieee_overflow 0
		.amdhsa_exception_fp_ieee_underflow 0
		.amdhsa_exception_fp_ieee_inexact 0
		.amdhsa_exception_int_div_zero 0
	.end_amdhsa_kernel
	.section	.text._ZL18flash_attn_ext_vecILi256ELi1EL9ggml_type2ELS0_2ELb0EEvPKcS2_S2_S2_S2_PKiPfP15HIP_vector_typeIfLj2EEffffjfiS6_IjLj3EEiiiiiiiiiiiliiliiiiil,"axG",@progbits,_ZL18flash_attn_ext_vecILi256ELi1EL9ggml_type2ELS0_2ELb0EEvPKcS2_S2_S2_S2_PKiPfP15HIP_vector_typeIfLj2EEffffjfiS6_IjLj3EEiiiiiiiiiiiliiliiiiil,comdat
.Lfunc_end23:
	.size	_ZL18flash_attn_ext_vecILi256ELi1EL9ggml_type2ELS0_2ELb0EEvPKcS2_S2_S2_S2_PKiPfP15HIP_vector_typeIfLj2EEffffjfiS6_IjLj3EEiiiiiiiiiiiliiliiiiil, .Lfunc_end23-_ZL18flash_attn_ext_vecILi256ELi1EL9ggml_type2ELS0_2ELb0EEvPKcS2_S2_S2_S2_PKiPfP15HIP_vector_typeIfLj2EEffffjfiS6_IjLj3EEiiiiiiiiiiiliiliiiiil
                                        ; -- End function
	.set _ZL18flash_attn_ext_vecILi256ELi1EL9ggml_type2ELS0_2ELb0EEvPKcS2_S2_S2_S2_PKiPfP15HIP_vector_typeIfLj2EEffffjfiS6_IjLj3EEiiiiiiiiiiiliiliiiiil.num_vgpr, 256
	.set _ZL18flash_attn_ext_vecILi256ELi1EL9ggml_type2ELS0_2ELb0EEvPKcS2_S2_S2_S2_PKiPfP15HIP_vector_typeIfLj2EEffffjfiS6_IjLj3EEiiiiiiiiiiiliiliiiiil.num_agpr, 0
	.set _ZL18flash_attn_ext_vecILi256ELi1EL9ggml_type2ELS0_2ELb0EEvPKcS2_S2_S2_S2_PKiPfP15HIP_vector_typeIfLj2EEffffjfiS6_IjLj3EEiiiiiiiiiiiliiliiiiil.numbered_sgpr, 100
	.set _ZL18flash_attn_ext_vecILi256ELi1EL9ggml_type2ELS0_2ELb0EEvPKcS2_S2_S2_S2_PKiPfP15HIP_vector_typeIfLj2EEffffjfiS6_IjLj3EEiiiiiiiiiiiliiliiiiil.num_named_barrier, 0
	.set _ZL18flash_attn_ext_vecILi256ELi1EL9ggml_type2ELS0_2ELb0EEvPKcS2_S2_S2_S2_PKiPfP15HIP_vector_typeIfLj2EEffffjfiS6_IjLj3EEiiiiiiiiiiiliiliiiiil.private_seg_size, 644
	.set _ZL18flash_attn_ext_vecILi256ELi1EL9ggml_type2ELS0_2ELb0EEvPKcS2_S2_S2_S2_PKiPfP15HIP_vector_typeIfLj2EEffffjfiS6_IjLj3EEiiiiiiiiiiiliiliiiiil.uses_vcc, 1
	.set _ZL18flash_attn_ext_vecILi256ELi1EL9ggml_type2ELS0_2ELb0EEvPKcS2_S2_S2_S2_PKiPfP15HIP_vector_typeIfLj2EEffffjfiS6_IjLj3EEiiiiiiiiiiiliiliiiiil.uses_flat_scratch, 0
	.set _ZL18flash_attn_ext_vecILi256ELi1EL9ggml_type2ELS0_2ELb0EEvPKcS2_S2_S2_S2_PKiPfP15HIP_vector_typeIfLj2EEffffjfiS6_IjLj3EEiiiiiiiiiiiliiliiiiil.has_dyn_sized_stack, 0
	.set _ZL18flash_attn_ext_vecILi256ELi1EL9ggml_type2ELS0_2ELb0EEvPKcS2_S2_S2_S2_PKiPfP15HIP_vector_typeIfLj2EEffffjfiS6_IjLj3EEiiiiiiiiiiiliiliiiiil.has_recursion, 0
	.set _ZL18flash_attn_ext_vecILi256ELi1EL9ggml_type2ELS0_2ELb0EEvPKcS2_S2_S2_S2_PKiPfP15HIP_vector_typeIfLj2EEffffjfiS6_IjLj3EEiiiiiiiiiiiliiliiiiil.has_indirect_call, 0
	.section	.AMDGPU.csdata,"",@progbits
; Kernel info:
; codeLenInByte = 40056
; TotalNumSgprs: 102
; NumVgprs: 256
; ScratchSize: 644
; MemoryBound: 0
; FloatMode: 240
; IeeeMode: 1
; LDSByteSize: 2304 bytes/workgroup (compile time only)
; SGPRBlocks: 0
; VGPRBlocks: 31
; NumSGPRsForWavesPerEU: 102
; NumVGPRsForWavesPerEU: 256
; Occupancy: 4
; WaveLimiterHint : 0
; COMPUTE_PGM_RSRC2:SCRATCH_EN: 1
; COMPUTE_PGM_RSRC2:USER_SGPR: 6
; COMPUTE_PGM_RSRC2:TRAP_HANDLER: 0
; COMPUTE_PGM_RSRC2:TGID_X_EN: 1
; COMPUTE_PGM_RSRC2:TGID_Y_EN: 1
; COMPUTE_PGM_RSRC2:TGID_Z_EN: 1
; COMPUTE_PGM_RSRC2:TIDIG_COMP_CNT: 1
	.section	.text._ZL33flash_attn_stream_k_fixup_uniformILi256ELi1ELi1EEvPfPK15HIP_vector_typeIfLj2EEiiiiiiS1_IjLj3EES5_S5_,"axG",@progbits,_ZL33flash_attn_stream_k_fixup_uniformILi256ELi1ELi1EEvPfPK15HIP_vector_typeIfLj2EEiiiiiiS1_IjLj3EES5_S5_,comdat
	.globl	_ZL33flash_attn_stream_k_fixup_uniformILi256ELi1ELi1EEvPfPK15HIP_vector_typeIfLj2EEiiiiiiS1_IjLj3EES5_S5_ ; -- Begin function _ZL33flash_attn_stream_k_fixup_uniformILi256ELi1ELi1EEvPfPK15HIP_vector_typeIfLj2EEiiiiiiS1_IjLj3EES5_S5_
	.p2align	8
	.type	_ZL33flash_attn_stream_k_fixup_uniformILi256ELi1ELi1EEvPfPK15HIP_vector_typeIfLj2EEiiiiiiS1_IjLj3EES5_S5_,@function
_ZL33flash_attn_stream_k_fixup_uniformILi256ELi1ELi1EEvPfPK15HIP_vector_typeIfLj2EEiiiiiiS1_IjLj3EES5_S5_: ; @_ZL33flash_attn_stream_k_fixup_uniformILi256ELi1ELi1EEvPfPK15HIP_vector_typeIfLj2EEiiiiiiS1_IjLj3EES5_S5_
; %bb.0:
	s_clause 0x1
	s_load_dwordx8 s[12:19], s[4:5], 0x1c
	s_load_dwordx4 s[0:3], s[4:5], 0x3c
	s_waitcnt lgkmcnt(0)
	s_mul_hi_u32 s9, s15, s6
	s_add_i32 s9, s6, s9
	s_lshr_b32 s9, s9, s16
	s_mul_i32 s10, s9, s17
	s_sub_i32 s16, s6, s10
	s_load_dwordx2 s[10:11], s[4:5], 0x10
	s_mul_hi_u32 s15, s16, s18
	s_add_i32 s15, s16, s15
	s_lshr_b32 s15, s15, s19
	s_mul_i32 s0, s15, s0
	s_sub_i32 s0, s16, s0
	s_mul_hi_u32 s1, s0, s1
	s_add_i32 s1, s0, s1
	s_lshr_b32 s17, s1, s2
	s_mul_i32 s1, s17, s3
	s_sub_i32 s16, s0, s1
	s_add_i32 s16, s16, s7
	s_waitcnt lgkmcnt(0)
	s_cmp_lt_i32 s16, s10
	s_cselect_b32 s0, -1, 0
	s_add_i32 s17, s17, s8
	s_cmp_lt_i32 s17, s13
	s_cselect_b32 s1, -1, 0
	s_and_b32 s0, s0, s1
	s_andn2_b32 vcc_lo, exec_lo, s0
	s_cbranch_vccnz .LBB24_6
; %bb.1:
	s_mul_i32 s9, s9, s10
	s_load_dwordx4 s[0:3], s[4:5], 0x0
	s_mul_i32 s15, s15, s13
	s_add_i32 s4, s16, s9
	s_add_i32 s5, s17, s15
	s_mul_i32 s4, s4, s11
	s_add_i32 s5, s5, s4
	s_mul_i32 s4, s14, s6
	v_lshl_or_b32 v1, s5, 8, v0
	s_add_i32 s6, s7, s8
	s_add_i32 s5, s4, s14
	;; [unrolled: 1-line block ×3, first 2 shown]
	v_ashrrev_i32_e32 v2, 31, v1
	v_lshlrev_b64 v[1:2], 2, v[1:2]
	s_waitcnt lgkmcnt(0)
	v_add_co_u32 v1, vcc_lo, s0, v1
	v_add_co_ci_u32_e64 v2, null, s1, v2, vcc_lo
	s_add_i32 s0, s7, -1
	s_ashr_i32 s1, s0, 31
	global_load_dword v5, v[1:2], off
	s_lshl_b64 s[0:1], s[0:1], 3
	s_add_u32 s0, s2, s0
	s_addc_u32 s1, s3, s1
	s_add_i32 s9, s5, -2
	s_load_dword s8, s[0:1], 0x4
	s_cmp_lt_i32 s9, s4
	s_cbranch_scc1 .LBB24_4
; %bb.2:
	s_load_dword s9, s[0:1], 0x0
	v_lshl_or_b32 v0, s7, 8, v0
	s_lshl_b32 s0, s12, 2
	s_waitcnt lgkmcnt(0)
	v_mov_b32_e32 v6, s8
	s_ashr_i32 s1, s0, 31
	s_lshl_b64 s[0:1], s[0:1], 2
	v_add_nc_u32_e32 v3, 0xfffffe00, v0
	s_add_u32 s0, s2, s0
	s_addc_u32 s1, s3, s1
	s_add_i32 s5, s5, -1
	s_add_i32 s6, s6, s12
	v_mov_b32_e32 v0, s9
.LBB24_3:                               ; =>This Inner Loop Header: Depth=1
	v_ashrrev_i32_e32 v4, 31, v3
	s_add_i32 s5, s5, -1
	s_add_i32 s8, s5, s6
	s_ashr_i32 s9, s8, 31
	v_lshlrev_b64 v[7:8], 2, v[3:4]
	s_lshl_b64 s[8:9], s[8:9], 3
	v_add_nc_u32_e32 v3, 0xffffff00, v3
	s_add_u32 s8, s2, s8
	s_addc_u32 s9, s3, s9
	s_cmp_le_i32 s5, s4
	v_add_co_u32 v7, vcc_lo, s0, v7
	v_add_co_ci_u32_e64 v8, null, s1, v8, vcc_lo
	s_load_dwordx2 s[8:9], s[8:9], 0x0
	global_load_dword v4, v[7:8], off
	v_max_f32_e32 v7, v0, v0
	s_waitcnt lgkmcnt(0)
	v_max_f32_e64 v8, s8, s8
	v_max_f32_e32 v7, v7, v8
	v_sub_f32_e32 v8, s8, v7
	v_sub_f32_e32 v0, v0, v7
	v_mul_f32_e32 v9, 0x3fb8aa3b, v8
	v_mul_f32_e32 v12, 0x3fb8aa3b, v0
	v_cmp_ngt_f32_e32 vcc_lo, 0xc2ce8ed0, v8
	v_fma_f32 v10, 0x3fb8aa3b, v8, -v9
	v_rndne_f32_e32 v11, v9
	v_fma_f32 v13, 0x3fb8aa3b, v0, -v12
	v_rndne_f32_e32 v14, v12
	v_fmac_f32_e32 v10, 0x32a5705f, v8
	v_sub_f32_e32 v9, v9, v11
	v_fmac_f32_e32 v13, 0x32a5705f, v0
	v_cvt_i32_f32_e32 v11, v11
	v_add_f32_e32 v9, v9, v10
	v_sub_f32_e32 v10, v12, v14
	v_exp_f32_e32 v9, v9
	v_add_f32_e32 v10, v10, v13
	v_exp_f32_e32 v10, v10
	v_ldexp_f32 v9, v9, v11
	v_cvt_i32_f32_e32 v11, v14
	v_cndmask_b32_e32 v9, 0, v9, vcc_lo
	v_cmp_nlt_f32_e32 vcc_lo, 0x42b17218, v8
	v_ldexp_f32 v10, v10, v11
	v_mov_b32_e32 v11, v6
	v_cndmask_b32_e32 v9, 0x7f800000, v9, vcc_lo
	v_cmp_ngt_f32_e32 vcc_lo, 0xc2ce8ed0, v0
	v_cndmask_b32_e32 v10, 0, v10, vcc_lo
	v_cmp_le_f32_e32 vcc_lo, 0xc1a00000, v8
	v_cndmask_b32_e32 v8, 0, v9, vcc_lo
	v_cmp_nlt_f32_e32 vcc_lo, 0x42b17218, v0
	s_waitcnt vmcnt(1)
	v_mov_b32_e32 v9, v5
	v_cndmask_b32_e32 v5, 0x7f800000, v10, vcc_lo
	v_mul_f32_e32 v10, s9, v8
	v_cmp_le_f32_e32 vcc_lo, 0xc1a00000, v0
	v_mov_b32_e32 v0, v7
	v_mov_b32_e32 v6, v10
	v_cndmask_b32_e32 v12, 0, v5, vcc_lo
	v_fmac_f32_e32 v6, v11, v12
	s_waitcnt vmcnt(0)
	v_mul_f32_e32 v5, v4, v8
	v_fmac_f32_e32 v5, v9, v12
	s_cbranch_scc0 .LBB24_3
	s_branch .LBB24_5
.LBB24_4:
	s_waitcnt lgkmcnt(0)
	v_mov_b32_e32 v6, s8
.LBB24_5:
	s_waitcnt vmcnt(0)
	v_div_scale_f32 v0, null, v6, v6, v5
	v_rcp_f32_e32 v3, v0
	v_fma_f32 v4, -v0, v3, 1.0
	v_fmac_f32_e32 v3, v4, v3
	v_div_scale_f32 v4, vcc_lo, v5, v6, v5
	v_mul_f32_e32 v7, v4, v3
	v_fma_f32 v8, -v0, v7, v4
	v_fmac_f32_e32 v7, v8, v3
	v_fma_f32 v0, -v0, v7, v4
	v_div_fmas_f32 v0, v0, v3, v7
	v_div_fixup_f32 v0, v0, v6, v5
	global_store_dword v[1:2], v0, off
.LBB24_6:
	s_endpgm
	.section	.rodata,"a",@progbits
	.p2align	6, 0x0
	.amdhsa_kernel _ZL33flash_attn_stream_k_fixup_uniformILi256ELi1ELi1EEvPfPK15HIP_vector_typeIfLj2EEiiiiiiS1_IjLj3EES5_S5_
		.amdhsa_group_segment_fixed_size 0
		.amdhsa_private_segment_fixed_size 0
		.amdhsa_kernarg_size 76
		.amdhsa_user_sgpr_count 6
		.amdhsa_user_sgpr_private_segment_buffer 1
		.amdhsa_user_sgpr_dispatch_ptr 0
		.amdhsa_user_sgpr_queue_ptr 0
		.amdhsa_user_sgpr_kernarg_segment_ptr 1
		.amdhsa_user_sgpr_dispatch_id 0
		.amdhsa_user_sgpr_flat_scratch_init 0
		.amdhsa_user_sgpr_private_segment_size 0
		.amdhsa_wavefront_size32 1
		.amdhsa_uses_dynamic_stack 0
		.amdhsa_system_sgpr_private_segment_wavefront_offset 0
		.amdhsa_system_sgpr_workgroup_id_x 1
		.amdhsa_system_sgpr_workgroup_id_y 1
		.amdhsa_system_sgpr_workgroup_id_z 1
		.amdhsa_system_sgpr_workgroup_info 0
		.amdhsa_system_vgpr_workitem_id 0
		.amdhsa_next_free_vgpr 15
		.amdhsa_next_free_sgpr 20
		.amdhsa_reserve_vcc 1
		.amdhsa_reserve_flat_scratch 0
		.amdhsa_float_round_mode_32 0
		.amdhsa_float_round_mode_16_64 0
		.amdhsa_float_denorm_mode_32 3
		.amdhsa_float_denorm_mode_16_64 3
		.amdhsa_dx10_clamp 1
		.amdhsa_ieee_mode 1
		.amdhsa_fp16_overflow 0
		.amdhsa_workgroup_processor_mode 1
		.amdhsa_memory_ordered 1
		.amdhsa_forward_progress 1
		.amdhsa_shared_vgpr_count 0
		.amdhsa_exception_fp_ieee_invalid_op 0
		.amdhsa_exception_fp_denorm_src 0
		.amdhsa_exception_fp_ieee_div_zero 0
		.amdhsa_exception_fp_ieee_overflow 0
		.amdhsa_exception_fp_ieee_underflow 0
		.amdhsa_exception_fp_ieee_inexact 0
		.amdhsa_exception_int_div_zero 0
	.end_amdhsa_kernel
	.section	.text._ZL33flash_attn_stream_k_fixup_uniformILi256ELi1ELi1EEvPfPK15HIP_vector_typeIfLj2EEiiiiiiS1_IjLj3EES5_S5_,"axG",@progbits,_ZL33flash_attn_stream_k_fixup_uniformILi256ELi1ELi1EEvPfPK15HIP_vector_typeIfLj2EEiiiiiiS1_IjLj3EES5_S5_,comdat
.Lfunc_end24:
	.size	_ZL33flash_attn_stream_k_fixup_uniformILi256ELi1ELi1EEvPfPK15HIP_vector_typeIfLj2EEiiiiiiS1_IjLj3EES5_S5_, .Lfunc_end24-_ZL33flash_attn_stream_k_fixup_uniformILi256ELi1ELi1EEvPfPK15HIP_vector_typeIfLj2EEiiiiiiS1_IjLj3EES5_S5_
                                        ; -- End function
	.set _ZL33flash_attn_stream_k_fixup_uniformILi256ELi1ELi1EEvPfPK15HIP_vector_typeIfLj2EEiiiiiiS1_IjLj3EES5_S5_.num_vgpr, 15
	.set _ZL33flash_attn_stream_k_fixup_uniformILi256ELi1ELi1EEvPfPK15HIP_vector_typeIfLj2EEiiiiiiS1_IjLj3EES5_S5_.num_agpr, 0
	.set _ZL33flash_attn_stream_k_fixup_uniformILi256ELi1ELi1EEvPfPK15HIP_vector_typeIfLj2EEiiiiiiS1_IjLj3EES5_S5_.numbered_sgpr, 20
	.set _ZL33flash_attn_stream_k_fixup_uniformILi256ELi1ELi1EEvPfPK15HIP_vector_typeIfLj2EEiiiiiiS1_IjLj3EES5_S5_.num_named_barrier, 0
	.set _ZL33flash_attn_stream_k_fixup_uniformILi256ELi1ELi1EEvPfPK15HIP_vector_typeIfLj2EEiiiiiiS1_IjLj3EES5_S5_.private_seg_size, 0
	.set _ZL33flash_attn_stream_k_fixup_uniformILi256ELi1ELi1EEvPfPK15HIP_vector_typeIfLj2EEiiiiiiS1_IjLj3EES5_S5_.uses_vcc, 1
	.set _ZL33flash_attn_stream_k_fixup_uniformILi256ELi1ELi1EEvPfPK15HIP_vector_typeIfLj2EEiiiiiiS1_IjLj3EES5_S5_.uses_flat_scratch, 0
	.set _ZL33flash_attn_stream_k_fixup_uniformILi256ELi1ELi1EEvPfPK15HIP_vector_typeIfLj2EEiiiiiiS1_IjLj3EES5_S5_.has_dyn_sized_stack, 0
	.set _ZL33flash_attn_stream_k_fixup_uniformILi256ELi1ELi1EEvPfPK15HIP_vector_typeIfLj2EEiiiiiiS1_IjLj3EES5_S5_.has_recursion, 0
	.set _ZL33flash_attn_stream_k_fixup_uniformILi256ELi1ELi1EEvPfPK15HIP_vector_typeIfLj2EEiiiiiiS1_IjLj3EES5_S5_.has_indirect_call, 0
	.section	.AMDGPU.csdata,"",@progbits
; Kernel info:
; codeLenInByte = 776
; TotalNumSgprs: 22
; NumVgprs: 15
; ScratchSize: 0
; MemoryBound: 0
; FloatMode: 240
; IeeeMode: 1
; LDSByteSize: 0 bytes/workgroup (compile time only)
; SGPRBlocks: 0
; VGPRBlocks: 1
; NumSGPRsForWavesPerEU: 22
; NumVGPRsForWavesPerEU: 15
; Occupancy: 16
; WaveLimiterHint : 0
; COMPUTE_PGM_RSRC2:SCRATCH_EN: 0
; COMPUTE_PGM_RSRC2:USER_SGPR: 6
; COMPUTE_PGM_RSRC2:TRAP_HANDLER: 0
; COMPUTE_PGM_RSRC2:TGID_X_EN: 1
; COMPUTE_PGM_RSRC2:TGID_Y_EN: 1
; COMPUTE_PGM_RSRC2:TGID_Z_EN: 1
; COMPUTE_PGM_RSRC2:TIDIG_COMP_CNT: 0
	.section	.text._ZL33flash_attn_stream_k_fixup_generalILi256ELi1ELi1EEvPfPK15HIP_vector_typeIfLj2EEiiiiS1_IjLj3EES5_S5_S5_,"axG",@progbits,_ZL33flash_attn_stream_k_fixup_generalILi256ELi1ELi1EEvPfPK15HIP_vector_typeIfLj2EEiiiiS1_IjLj3EES5_S5_S5_,comdat
	.globl	_ZL33flash_attn_stream_k_fixup_generalILi256ELi1ELi1EEvPfPK15HIP_vector_typeIfLj2EEiiiiS1_IjLj3EES5_S5_S5_ ; -- Begin function _ZL33flash_attn_stream_k_fixup_generalILi256ELi1ELi1EEvPfPK15HIP_vector_typeIfLj2EEiiiiS1_IjLj3EES5_S5_S5_
	.p2align	8
	.type	_ZL33flash_attn_stream_k_fixup_generalILi256ELi1ELi1EEvPfPK15HIP_vector_typeIfLj2EEiiiiS1_IjLj3EES5_S5_S5_,@function
_ZL33flash_attn_stream_k_fixup_generalILi256ELi1ELi1EEvPfPK15HIP_vector_typeIfLj2EEiiiiS1_IjLj3EES5_S5_S5_: ; @_ZL33flash_attn_stream_k_fixup_generalILi256ELi1ELi1EEvPfPK15HIP_vector_typeIfLj2EEiiiiS1_IjLj3EES5_S5_S5_
; %bb.0:
	s_clause 0x1
	s_load_dwordx4 s[0:3], s[4:5], 0x10
	s_load_dword s9, s[4:5], 0x50
	s_mov_b32 s16, 0
	s_waitcnt lgkmcnt(0)
	s_mul_hi_i32 s17, s3, s6
	s_mul_i32 s18, s3, s6
	s_cmp_lg_u64 s[16:17], 0
	s_cbranch_scc0 .LBB25_21
; %bb.1:
	s_add_u32 s10, s9, 0
	s_addc_u32 s11, 0, 0
	s_xor_b64 s[10:11], s[10:11], 0
	v_cvt_f32_u32_e32 v1, s10
	v_cvt_f32_u32_e32 v2, s11
	s_sub_u32 s14, 0, s10
	s_subb_u32 s15, 0, s11
	v_fmamk_f32 v1, v2, 0x4f800000, v1
	v_rcp_f32_e32 v1, v1
	v_mul_f32_e32 v1, 0x5f7ffffc, v1
	v_mul_f32_e32 v2, 0x2f800000, v1
	v_trunc_f32_e32 v2, v2
	v_fmamk_f32 v1, v2, 0xcf800000, v1
	v_cvt_u32_f32_e32 v2, v2
	v_cvt_u32_f32_e32 v1, v1
	v_readfirstlane_b32 s12, v2
	v_readfirstlane_b32 s13, v1
	s_mul_i32 s19, s14, s12
	s_mul_hi_u32 s21, s14, s13
	s_mul_i32 s20, s15, s13
	s_add_i32 s19, s21, s19
	s_mul_i32 s22, s14, s13
	s_add_i32 s19, s19, s20
	s_mul_hi_u32 s21, s13, s22
	s_mul_i32 s24, s13, s19
	s_mul_hi_u32 s23, s12, s22
	s_mul_i32 s20, s12, s22
	s_mul_hi_u32 s22, s13, s19
	s_add_u32 s21, s21, s24
	s_addc_u32 s22, 0, s22
	s_mul_hi_u32 s25, s12, s19
	s_add_u32 s20, s21, s20
	s_mul_i32 s19, s12, s19
	s_addc_u32 s20, s22, s23
	s_addc_u32 s21, s25, 0
	s_add_u32 s19, s20, s19
	s_addc_u32 s20, 0, s21
	s_add_u32 s13, s13, s19
	s_cselect_b32 s19, -1, 0
	s_mul_hi_u32 s21, s14, s13
	s_cmp_lg_u32 s19, 0
	s_mul_i32 s19, s14, s13
	s_addc_u32 s12, s12, s20
	s_mul_i32 s15, s15, s13
	s_mul_i32 s14, s14, s12
	s_mul_hi_u32 s20, s13, s19
	s_add_i32 s14, s21, s14
	s_mul_hi_u32 s21, s12, s19
	s_add_i32 s14, s14, s15
	s_mul_i32 s15, s12, s19
	s_mul_i32 s23, s13, s14
	s_mul_hi_u32 s22, s13, s14
	s_add_u32 s20, s20, s23
	s_addc_u32 s22, 0, s22
	s_mul_hi_u32 s19, s12, s14
	s_add_u32 s15, s20, s15
	s_mul_i32 s14, s12, s14
	s_addc_u32 s15, s22, s21
	s_addc_u32 s19, s19, 0
	s_add_u32 s14, s15, s14
	s_addc_u32 s15, 0, s19
	s_add_u32 s19, s13, s14
	s_cselect_b32 s13, -1, 0
	s_cmp_lg_u32 s13, 0
	s_addc_u32 s20, s12, s15
	s_ashr_i32 s12, s17, 31
	s_add_u32 s14, s18, s12
	s_mov_b32 s13, s12
	s_addc_u32 s15, s17, s12
	s_xor_b64 s[14:15], s[14:15], s[12:13]
	s_mul_i32 s21, s14, s20
	s_mul_hi_u32 s22, s14, s19
	s_mul_hi_u32 s17, s14, s20
	;; [unrolled: 1-line block ×3, first 2 shown]
	s_mul_i32 s19, s15, s19
	s_add_u32 s21, s22, s21
	s_addc_u32 s17, 0, s17
	s_mul_hi_u32 s23, s15, s20
	s_add_u32 s19, s21, s19
	s_mul_i32 s20, s15, s20
	s_addc_u32 s17, s17, s24
	s_addc_u32 s19, s23, 0
	s_add_u32 s17, s17, s20
	s_addc_u32 s19, 0, s19
	s_mul_hi_u32 s20, s10, s17
	s_mul_i32 s21, s10, s19
	s_mul_i32 s22, s11, s17
	s_add_i32 s20, s20, s21
	s_mul_i32 s21, s10, s17
	s_add_i32 s20, s20, s22
	s_sub_i32 s22, s15, s20
	s_sub_u32 s14, s14, s21
	s_cselect_b32 s21, -1, 0
	s_cmp_lg_u32 s21, 0
	s_subb_u32 s22, s22, s11
	s_sub_u32 s23, s14, s10
	s_cselect_b32 s24, -1, 0
	s_cmp_lg_u32 s24, 0
	s_subb_u32 s22, s22, 0
	s_cmp_ge_u32 s22, s11
	s_cselect_b32 s24, -1, 0
	s_cmp_ge_u32 s23, s10
	s_cselect_b32 s23, -1, 0
	s_cmp_eq_u32 s22, s11
	s_cselect_b32 s22, s23, s24
	s_add_u32 s23, s17, 1
	s_addc_u32 s24, s19, 0
	s_add_u32 s25, s17, 2
	s_addc_u32 s26, s19, 0
	s_cmp_lg_u32 s22, 0
	s_cselect_b32 s22, s25, s23
	s_cselect_b32 s23, s26, s24
	s_cmp_lg_u32 s21, 0
	s_subb_u32 s15, s15, s20
	s_cmp_ge_u32 s15, s11
	s_cselect_b32 s20, -1, 0
	s_cmp_ge_u32 s14, s10
	s_cselect_b32 s10, -1, 0
	s_cmp_eq_u32 s15, s11
	s_cselect_b32 s10, s10, s20
	s_cmp_lg_u32 s10, 0
	s_cselect_b32 s11, s23, s19
	s_cselect_b32 s10, s22, s17
	s_xor_b64 s[12:13], s[12:13], 0
	s_xor_b64 s[10:11], s[10:11], s[12:13]
	s_sub_u32 s10, s10, s12
	s_load_dwordx4 s[12:15], s[4:5], 0x44
	s_andn2_b32 vcc_lo, exec_lo, s16
	s_cbranch_vccnz .LBB25_3
.LBB25_2:
	v_cvt_f32_u32_e32 v1, s9
	s_sub_i32 s11, 0, s9
	v_rcp_iflag_f32_e32 v1, v1
	v_mul_f32_e32 v1, 0x4f7ffffe, v1
	v_cvt_u32_f32_e32 v1, v1
	v_readfirstlane_b32 s10, v1
	s_mul_i32 s11, s11, s10
	s_mul_hi_u32 s11, s10, s11
	s_add_i32 s10, s10, s11
	s_mul_hi_u32 s10, s18, s10
	s_mul_i32 s11, s10, s9
	s_waitcnt lgkmcnt(0)
	s_add_i32 s15, s10, 1
	s_sub_i32 s11, s18, s11
	s_sub_i32 s16, s11, s9
	s_cmp_ge_u32 s11, s9
	s_cselect_b32 s10, s15, s10
	s_cselect_b32 s11, s16, s11
	s_add_i32 s15, s10, 1
	s_cmp_ge_u32 s11, s9
	s_cselect_b32 s10, s15, s10
.LBB25_3:
	s_add_i32 s11, s6, 1
	s_mov_b32 s16, 0
	s_mul_hi_i32 s17, s3, s11
	s_mul_i32 s11, s3, s11
	s_cmp_lg_u64 s[16:17], 0
	s_cbranch_scc0 .LBB25_22
; %bb.4:
	s_add_u32 s18, s9, 0
	s_addc_u32 s19, 0, 0
	s_xor_b64 s[18:19], s[18:19], 0
	v_cvt_f32_u32_e32 v1, s18
	v_cvt_f32_u32_e32 v2, s19
	s_sub_u32 s21, 0, s18
	s_subb_u32 s22, 0, s19
	v_fmamk_f32 v1, v2, 0x4f800000, v1
	v_rcp_f32_e32 v1, v1
	v_mul_f32_e32 v1, 0x5f7ffffc, v1
	v_mul_f32_e32 v2, 0x2f800000, v1
	v_trunc_f32_e32 v2, v2
	v_fmamk_f32 v1, v2, 0xcf800000, v1
	v_cvt_u32_f32_e32 v2, v2
	v_cvt_u32_f32_e32 v1, v1
	s_waitcnt lgkmcnt(0)
	v_readfirstlane_b32 s15, v2
	v_readfirstlane_b32 s20, v1
	s_mul_i32 s23, s21, s15
	s_mul_hi_u32 s25, s21, s20
	s_mul_i32 s24, s22, s20
	s_add_i32 s23, s25, s23
	s_mul_i32 s26, s21, s20
	s_add_i32 s23, s23, s24
	s_mul_hi_u32 s25, s20, s26
	s_mul_i32 s28, s20, s23
	s_mul_hi_u32 s27, s15, s26
	s_mul_i32 s24, s15, s26
	s_mul_hi_u32 s26, s20, s23
	s_add_u32 s25, s25, s28
	s_addc_u32 s26, 0, s26
	s_mul_hi_u32 s29, s15, s23
	s_add_u32 s24, s25, s24
	s_mul_i32 s23, s15, s23
	s_addc_u32 s24, s26, s27
	s_addc_u32 s25, s29, 0
	s_add_u32 s23, s24, s23
	s_addc_u32 s24, 0, s25
	s_add_u32 s20, s20, s23
	s_cselect_b32 s23, -1, 0
	s_mul_hi_u32 s25, s21, s20
	s_cmp_lg_u32 s23, 0
	s_mul_i32 s23, s21, s20
	s_addc_u32 s15, s15, s24
	s_mul_i32 s22, s22, s20
	s_mul_i32 s21, s21, s15
	s_mul_hi_u32 s24, s20, s23
	s_add_i32 s21, s25, s21
	s_mul_hi_u32 s25, s15, s23
	s_add_i32 s21, s21, s22
	s_mul_i32 s22, s15, s23
	s_mul_i32 s27, s20, s21
	s_mul_hi_u32 s26, s20, s21
	s_add_u32 s24, s24, s27
	s_addc_u32 s26, 0, s26
	s_mul_hi_u32 s23, s15, s21
	s_add_u32 s22, s24, s22
	s_mul_i32 s21, s15, s21
	s_addc_u32 s22, s26, s25
	s_addc_u32 s23, s23, 0
	s_add_u32 s21, s22, s21
	s_addc_u32 s22, 0, s23
	s_add_u32 s24, s20, s21
	s_cselect_b32 s20, -1, 0
	s_cmp_lg_u32 s20, 0
	s_addc_u32 s15, s15, s22
	s_ashr_i32 s20, s17, 31
	s_add_u32 s22, s11, s20
	s_mov_b32 s21, s20
	s_addc_u32 s23, s17, s20
	s_xor_b64 s[22:23], s[22:23], s[20:21]
	s_mul_i32 s25, s22, s15
	s_mul_hi_u32 s26, s22, s24
	s_mul_hi_u32 s17, s22, s15
	s_mul_hi_u32 s28, s23, s24
	s_mul_i32 s24, s23, s24
	s_add_u32 s25, s26, s25
	s_addc_u32 s17, 0, s17
	s_mul_hi_u32 s27, s23, s15
	s_add_u32 s24, s25, s24
	s_mul_i32 s15, s23, s15
	s_addc_u32 s17, s17, s28
	s_addc_u32 s24, s27, 0
	s_add_u32 s15, s17, s15
	s_addc_u32 s17, 0, s24
	s_mul_hi_u32 s24, s18, s15
	s_mul_i32 s25, s18, s17
	s_mul_i32 s26, s19, s15
	s_add_i32 s24, s24, s25
	s_mul_i32 s25, s18, s15
	s_add_i32 s24, s24, s26
	s_sub_i32 s26, s23, s24
	s_sub_u32 s22, s22, s25
	s_cselect_b32 s25, -1, 0
	s_cmp_lg_u32 s25, 0
	s_subb_u32 s26, s26, s19
	s_sub_u32 s27, s22, s18
	s_cselect_b32 s28, -1, 0
	s_cmp_lg_u32 s28, 0
	s_subb_u32 s26, s26, 0
	s_cmp_ge_u32 s26, s19
	s_cselect_b32 s28, -1, 0
	s_cmp_ge_u32 s27, s18
	s_cselect_b32 s27, -1, 0
	s_cmp_eq_u32 s26, s19
	s_cselect_b32 s26, s27, s28
	s_add_u32 s27, s15, 1
	s_addc_u32 s28, s17, 0
	s_add_u32 s29, s15, 2
	s_addc_u32 s30, s17, 0
	s_cmp_lg_u32 s26, 0
	s_cselect_b32 s26, s29, s27
	s_cselect_b32 s27, s30, s28
	s_cmp_lg_u32 s25, 0
	s_subb_u32 s23, s23, s24
	s_cmp_ge_u32 s23, s19
	s_cselect_b32 s24, -1, 0
	s_cmp_ge_u32 s22, s18
	s_cselect_b32 s18, -1, 0
	s_cmp_eq_u32 s23, s19
	s_cselect_b32 s18, s18, s24
	s_cmp_lg_u32 s18, 0
	s_cselect_b32 s19, s27, s17
	s_cselect_b32 s18, s26, s15
	s_xor_b64 s[20:21], s[20:21], 0
	s_xor_b64 s[18:19], s[18:19], s[20:21]
	s_sub_u32 s18, s18, s20
	s_andn2_b32 vcc_lo, exec_lo, s16
	s_cbranch_vccnz .LBB25_6
.LBB25_5:
	v_cvt_f32_u32_e32 v1, s9
	s_sub_i32 s16, 0, s9
	v_rcp_iflag_f32_e32 v1, v1
	v_mul_f32_e32 v1, 0x4f7ffffe, v1
	v_cvt_u32_f32_e32 v1, v1
	s_waitcnt lgkmcnt(0)
	v_readfirstlane_b32 s15, v1
	s_mul_i32 s16, s16, s15
	s_mul_hi_u32 s16, s15, s16
	s_add_i32 s15, s15, s16
	s_mul_hi_u32 s15, s11, s15
	s_mul_i32 s16, s15, s9
	s_sub_i32 s11, s11, s16
	s_add_i32 s16, s15, 1
	s_sub_i32 s17, s11, s9
	s_cmp_ge_u32 s11, s9
	s_cselect_b32 s15, s16, s15
	s_cselect_b32 s11, s17, s11
	s_add_i32 s16, s15, 1
	s_cmp_ge_u32 s11, s9
	s_cselect_b32 s18, s16, s15
.LBB25_6:
	s_cmp_eq_u32 s10, s18
	s_waitcnt lgkmcnt(0)
	s_mul_hi_u32 s11, s10, s12
	s_cselect_b32 s15, -1, 0
	s_add_i32 s11, s11, s10
	s_lshr_b32 s11, s11, s13
	s_mul_i32 s16, s11, s14
	s_cmp_eq_u32 s16, s10
	s_mul_hi_u32 s16, s18, s12
	s_cselect_b32 s17, -1, 0
	s_add_i32 s16, s16, s18
	s_lshr_b32 s16, s16, s13
	s_cmp_eq_u32 s11, s16
	s_mul_i32 s16, s16, s14
	s_cselect_b32 s19, -1, 0
	s_cmp_lg_u32 s16, s18
	s_cselect_b32 s16, -1, 0
	s_or_b32 s15, s15, s17
	s_and_b32 s16, s19, s16
	s_or_b32 s15, s15, s16
	s_and_b32 vcc_lo, exec_lo, s15
	s_cbranch_vccnz .LBB25_24
; %bb.7:
	s_load_dwordx8 s[16:23], s[4:5], 0x20
	s_waitcnt lgkmcnt(0)
	s_mul_hi_u32 s15, s10, s16
	s_load_dword s16, s[4:5], 0x40
	s_add_i32 s15, s15, s10
	s_lshr_b32 s15, s15, s17
	s_mul_i32 s17, s15, s18
	s_sub_i32 s17, s10, s17
	s_mul_hi_u32 s18, s17, s19
	s_add_i32 s18, s17, s18
	s_lshr_b32 s20, s18, s20
	s_mul_i32 s18, s20, s21
	s_sub_i32 s17, s17, s18
	s_mul_hi_u32 s18, s17, s22
	s_add_i32 s18, s17, s18
	s_lshr_b32 s22, s18, s23
	s_waitcnt lgkmcnt(0)
	s_mul_i32 s16, s22, s16
	s_sub_i32 s16, s17, s16
	s_mul_hi_u32 s17, s16, s12
	s_add_i32 s16, s16, s17
	s_lshr_b32 s21, s16, s13
	s_add_i32 s21, s21, s7
	s_cmp_lt_i32 s21, s0
	s_cselect_b32 s16, -1, 0
	s_add_i32 s22, s22, s8
	s_cmp_lt_i32 s22, s2
	s_cselect_b32 s17, -1, 0
	s_and_b32 s16, s16, s17
	s_andn2_b32 vcc_lo, exec_lo, s16
	s_cbranch_vccnz .LBB25_24
; %bb.8:
	s_load_dwordx4 s[16:19], s[4:5], 0x0
	s_mov_b32 s4, 0
	s_lshl_b32 s24, s9, 2
	s_mov_b32 s25, s4
	s_add_i32 s8, s7, s8
	s_lshl_b64 s[24:25], s[24:25], 2
	s_mul_i32 s0, s15, s0
	s_mul_i32 s20, s20, s2
	v_cvt_f32_u32_e32 v3, s9
	v_rcp_iflag_f32_e32 v3, v3
	s_waitcnt lgkmcnt(0)
	s_add_u32 s2, s18, s24
	s_addc_u32 s15, s19, s25
	s_add_i32 s0, s21, s0
	s_add_i32 s5, s22, s20
	s_mul_i32 s0, s0, s1
	v_mul_f32_e32 v3, 0x4f7ffffe, v3
	s_add_i32 s5, s5, s0
	s_add_i32 s0, s8, s6
	v_lshl_or_b32 v1, s5, 8, v0
	s_ashr_i32 s1, s0, 31
	v_cvt_u32_f32_e32 v3, v3
	s_lshl_b64 s[0:1], s[0:1], 3
	v_ashrrev_i32_e32 v2, 31, v1
	s_add_u32 s0, s18, s0
	s_addc_u32 s1, s19, s1
	s_load_dwordx2 s[0:1], s[0:1], 0x0
	v_lshlrev_b64 v[1:2], 2, v[1:2]
	v_add_co_u32 v1, vcc_lo, s16, v1
	v_add_co_ci_u32_e64 v2, null, s17, v2, vcc_lo
	s_add_i32 s17, s6, -1
	s_sub_i32 s16, 0, s9
	global_load_dword v4, v[1:2], off
	s_waitcnt lgkmcnt(0)
	v_mov_b32_e32 v5, s1
	v_mov_b32_e32 v6, s0
.LBB25_9:                               ; =>This Inner Loop Header: Depth=1
	s_mul_hi_i32 s5, s17, s3
	s_mul_i32 s6, s17, s3
	s_cmp_lg_u64 s[4:5], 0
	s_mov_b32 s7, -1
                                        ; implicit-def: $sgpr0_sgpr1
	s_cbranch_scc0 .LBB25_11
; %bb.10:                               ;   in Loop: Header=BB25_9 Depth=1
	s_add_u32 s0, s9, 0
	s_addc_u32 s1, 0, 0
	s_xor_b64 s[0:1], s[0:1], 0
	v_cvt_f32_u32_e32 v7, s0
	v_cvt_f32_u32_e32 v8, s1
	s_sub_u32 s21, 0, s0
	s_subb_u32 s22, 0, s1
	v_fmac_f32_e32 v7, 0x4f800000, v8
	v_rcp_f32_e32 v7, v7
	v_mul_f32_e32 v7, 0x5f7ffffc, v7
	v_mul_f32_e32 v8, 0x2f800000, v7
	v_trunc_f32_e32 v8, v8
	v_fmac_f32_e32 v7, 0xcf800000, v8
	v_cvt_u32_f32_e32 v8, v8
	v_cvt_u32_f32_e32 v7, v7
	v_readfirstlane_b32 s7, v8
	v_readfirstlane_b32 s20, v7
	s_mul_i32 s23, s21, s7
	s_mul_hi_u32 s25, s21, s20
	s_mul_i32 s24, s22, s20
	s_add_i32 s23, s25, s23
	s_mul_i32 s26, s21, s20
	s_add_i32 s23, s23, s24
	s_mul_hi_u32 s25, s20, s26
	s_mul_i32 s28, s20, s23
	s_mul_hi_u32 s27, s7, s26
	s_mul_i32 s24, s7, s26
	s_mul_hi_u32 s26, s20, s23
	s_add_u32 s25, s25, s28
	s_addc_u32 s26, 0, s26
	s_mul_hi_u32 s29, s7, s23
	s_add_u32 s24, s25, s24
	s_mul_i32 s23, s7, s23
	s_addc_u32 s24, s26, s27
	s_addc_u32 s25, s29, 0
	s_add_u32 s23, s24, s23
	s_addc_u32 s24, 0, s25
	s_add_u32 s20, s20, s23
	s_cselect_b32 s23, -1, 0
	s_mul_hi_u32 s25, s21, s20
	s_cmp_lg_u32 s23, 0
	s_mul_i32 s23, s21, s20
	s_addc_u32 s7, s7, s24
	s_mul_i32 s22, s22, s20
	s_mul_i32 s21, s21, s7
	s_mul_hi_u32 s24, s20, s23
	s_add_i32 s21, s25, s21
	s_mul_hi_u32 s25, s7, s23
	s_add_i32 s21, s21, s22
	s_mul_i32 s22, s7, s23
	s_mul_i32 s27, s20, s21
	s_mul_hi_u32 s26, s20, s21
	s_add_u32 s24, s24, s27
	s_addc_u32 s26, 0, s26
	s_mul_hi_u32 s23, s7, s21
	s_add_u32 s22, s24, s22
	s_mul_i32 s21, s7, s21
	s_addc_u32 s22, s26, s25
	s_addc_u32 s23, s23, 0
	s_add_u32 s21, s22, s21
	s_addc_u32 s22, 0, s23
	s_add_u32 s24, s20, s21
	s_cselect_b32 s20, -1, 0
	s_cmp_lg_u32 s20, 0
	s_addc_u32 s7, s7, s22
	s_ashr_i32 s20, s5, 31
	s_add_u32 s22, s6, s20
	s_mov_b32 s21, s20
	s_addc_u32 s23, s5, s20
	s_xor_b64 s[22:23], s[22:23], s[20:21]
	s_mul_i32 s25, s22, s7
	s_mul_hi_u32 s26, s22, s24
	s_mul_hi_u32 s5, s22, s7
	s_mul_hi_u32 s28, s23, s24
	s_mul_i32 s24, s23, s24
	s_add_u32 s25, s26, s25
	s_addc_u32 s5, 0, s5
	s_mul_hi_u32 s27, s23, s7
	s_add_u32 s24, s25, s24
	s_mul_i32 s7, s23, s7
	s_addc_u32 s5, s5, s28
	s_addc_u32 s24, s27, 0
	s_add_u32 s5, s5, s7
	s_addc_u32 s7, 0, s24
	s_mul_hi_u32 s24, s0, s5
	s_mul_i32 s25, s0, s7
	s_mul_i32 s26, s1, s5
	s_add_i32 s24, s24, s25
	s_mul_i32 s25, s0, s5
	s_add_i32 s24, s24, s26
	s_sub_i32 s26, s23, s24
	s_sub_u32 s22, s22, s25
	s_cselect_b32 s25, -1, 0
	s_cmp_lg_u32 s25, 0
	s_subb_u32 s26, s26, s1
	s_sub_u32 s27, s22, s0
	s_cselect_b32 s28, -1, 0
	s_cmp_lg_u32 s28, 0
	s_subb_u32 s26, s26, 0
	s_cmp_ge_u32 s26, s1
	s_cselect_b32 s28, -1, 0
	s_cmp_ge_u32 s27, s0
	s_cselect_b32 s27, -1, 0
	s_cmp_eq_u32 s26, s1
	s_cselect_b32 s26, s27, s28
	s_add_u32 s27, s5, 1
	s_addc_u32 s28, s7, 0
	s_add_u32 s29, s5, 2
	s_addc_u32 s30, s7, 0
	s_cmp_lg_u32 s26, 0
	s_cselect_b32 s26, s29, s27
	s_cselect_b32 s27, s30, s28
	s_cmp_lg_u32 s25, 0
	s_subb_u32 s23, s23, s24
	s_cmp_ge_u32 s23, s1
	s_cselect_b32 s24, -1, 0
	s_cmp_ge_u32 s22, s0
	s_cselect_b32 s0, -1, 0
	s_cmp_eq_u32 s23, s1
	s_cselect_b32 s0, s0, s24
	s_cmp_lg_u32 s0, 0
	s_cselect_b32 s1, s27, s7
	s_cselect_b32 s0, s26, s5
	s_xor_b64 s[20:21], s[20:21], 0
	s_mov_b32 s7, 0
	s_xor_b64 s[0:1], s[0:1], s[20:21]
	s_sub_u32 s0, s0, s20
.LBB25_11:                              ;   in Loop: Header=BB25_9 Depth=1
	s_andn2_b32 vcc_lo, exec_lo, s7
	s_cbranch_vccnz .LBB25_13
; %bb.12:                               ;   in Loop: Header=BB25_9 Depth=1
	v_readfirstlane_b32 s0, v3
	s_mul_i32 s1, s16, s0
	s_mul_hi_u32 s1, s0, s1
	s_add_i32 s0, s0, s1
	s_mul_hi_u32 s0, s6, s0
	s_mul_i32 s1, s0, s9
	s_add_i32 s5, s0, 1
	s_sub_i32 s1, s6, s1
	s_sub_i32 s6, s1, s9
	s_cmp_ge_u32 s1, s9
	s_cselect_b32 s0, s5, s0
	s_cselect_b32 s1, s6, s1
	s_add_i32 s5, s0, 1
	s_cmp_ge_u32 s1, s9
	s_cselect_b32 s0, s5, s0
.LBB25_13:                              ;   in Loop: Header=BB25_9 Depth=1
	s_cmp_lg_u32 s10, s0
	s_mov_b32 s6, -1
                                        ; implicit-def: $sgpr5
                                        ; implicit-def: $vgpr8
                                        ; implicit-def: $vgpr7
                                        ; implicit-def: $vgpr9
                                        ; implicit-def: $sgpr1
                                        ; implicit-def: $sgpr20
	s_cbranch_scc0 .LBB25_18
; %bb.14:                               ;   in Loop: Header=BB25_9 Depth=1
	s_add_i32 s21, s17, s8
	s_mov_b32 s7, s4
	s_add_i32 s6, s21, s9
	s_mul_hi_u32 s1, s0, s12
	s_lshl_b64 s[6:7], s[6:7], 3
	s_mov_b32 s20, s10
	s_add_u32 s6, s18, s6
	s_addc_u32 s7, s19, s7
	s_add_i32 s1, s1, s0
	s_lshr_b32 s1, s1, s13
	s_mul_i32 s5, s1, s14
	s_cmp_eq_u32 s5, s0
	s_cselect_b32 s5, -1, 0
	s_cmp_lt_u32 s1, s11
	s_cselect_b32 s1, -1, 0
	s_or_b32 s1, s1, s5
	s_mov_b32 s5, -1
	s_and_b32 vcc_lo, exec_lo, s1
	s_mov_b32 s1, s17
	s_cbranch_vccnz .LBB25_16
; %bb.15:                               ;   in Loop: Header=BB25_9 Depth=1
	s_add_i32 s1, s17, -1
	s_mov_b32 s5, 0
	s_mov_b32 s20, s0
.LBB25_16:                              ;   in Loop: Header=BB25_9 Depth=1
	v_lshl_or_b32 v7, s21, 8, v0
	s_load_dwordx2 s[6:7], s[6:7], 0x0
	v_ashrrev_i32_e32 v8, 31, v7
	v_lshlrev_b64 v[7:8], 2, v[7:8]
	v_add_co_u32 v7, vcc_lo, s2, v7
	v_add_co_ci_u32_e64 v8, null, s15, v8, vcc_lo
	s_waitcnt lgkmcnt(0)
	v_max_f32_e64 v9, s6, s6
	global_load_dword v8, v[7:8], off
	v_max_f32_e32 v7, v6, v6
	v_max_f32_e32 v7, v7, v9
	v_sub_f32_e32 v9, s6, v7
	v_sub_f32_e32 v10, v6, v7
	v_mul_f32_e32 v11, 0x3fb8aa3b, v9
	v_mul_f32_e32 v12, 0x3fb8aa3b, v10
	v_cmp_ngt_f32_e32 vcc_lo, 0xc2ce8ed0, v9
	v_fma_f32 v13, 0x3fb8aa3b, v9, -v11
	v_rndne_f32_e32 v14, v11
	v_fma_f32 v15, 0x3fb8aa3b, v10, -v12
	v_rndne_f32_e32 v16, v12
	v_fmac_f32_e32 v13, 0x32a5705f, v9
	v_sub_f32_e32 v11, v11, v14
	v_fmac_f32_e32 v15, 0x32a5705f, v10
	v_sub_f32_e32 v12, v12, v16
	v_add_f32_e32 v11, v11, v13
	v_cvt_i32_f32_e32 v13, v14
	v_add_f32_e32 v12, v12, v15
	v_cvt_i32_f32_e32 v14, v16
	v_exp_f32_e32 v11, v11
	v_exp_f32_e32 v12, v12
	v_ldexp_f32 v11, v11, v13
	v_ldexp_f32 v12, v12, v14
	v_cndmask_b32_e32 v11, 0, v11, vcc_lo
	v_cmp_ngt_f32_e32 vcc_lo, 0xc2ce8ed0, v10
	v_cndmask_b32_e32 v12, 0, v12, vcc_lo
	v_cmp_nlt_f32_e32 vcc_lo, 0x42b17218, v9
	v_cndmask_b32_e32 v11, 0x7f800000, v11, vcc_lo
	v_cmp_nlt_f32_e32 vcc_lo, 0x42b17218, v10
	v_cndmask_b32_e32 v12, 0x7f800000, v12, vcc_lo
	v_cmp_le_f32_e32 vcc_lo, 0xc1a00000, v9
	v_cndmask_b32_e32 v9, 0, v11, vcc_lo
	v_cmp_le_f32_e32 vcc_lo, 0xc1a00000, v10
	v_cndmask_b32_e32 v10, 0, v12, vcc_lo
	s_waitcnt vmcnt(0)
	v_mul_f32_e32 v8, v8, v9
	v_mul_f32_e32 v9, s7, v9
	v_fmac_f32_e32 v8, v4, v10
	v_fmac_f32_e32 v9, v5, v10
	s_cbranch_execz .LBB25_19
.LBB25_17:                              ;   in Loop: Header=BB25_9 Depth=1
	s_andn2_b32 vcc_lo, exec_lo, s5
	s_cbranch_vccnz .LBB25_20
	s_branch .LBB25_23
.LBB25_18:                              ;   in Loop: Header=BB25_9 Depth=1
	s_andn2_b32 vcc_lo, exec_lo, s6
	s_cbranch_vccnz .LBB25_17
.LBB25_19:                              ;   in Loop: Header=BB25_9 Depth=1
	v_mov_b32_e32 v9, v5
	v_mov_b32_e32 v7, v6
	s_waitcnt vmcnt(0)
	v_mov_b32_e32 v8, v4
	s_add_i32 s1, s17, -1
	s_mov_b32 s20, s10
	s_cbranch_execz .LBB25_23
.LBB25_20:                              ;   in Loop: Header=BB25_9 Depth=1
	v_mov_b32_e32 v5, v9
	v_mov_b32_e32 v6, v7
	s_waitcnt vmcnt(0)
	v_mov_b32_e32 v4, v8
	s_mov_b32 s10, s20
	s_mov_b32 s17, s1
	s_branch .LBB25_9
.LBB25_21:
                                        ; implicit-def: $sgpr10_sgpr11
	s_load_dwordx4 s[12:15], s[4:5], 0x44
	s_branch .LBB25_2
.LBB25_22:
                                        ; implicit-def: $sgpr18_sgpr19
	s_branch .LBB25_5
.LBB25_23:
	v_div_scale_f32 v0, null, v9, v9, v8
	v_rcp_f32_e32 v3, v0
	s_waitcnt vmcnt(0)
	v_fma_f32 v4, -v0, v3, 1.0
	v_fmac_f32_e32 v3, v4, v3
	v_div_scale_f32 v4, vcc_lo, v8, v9, v8
	v_mul_f32_e32 v5, v4, v3
	v_fma_f32 v6, -v0, v5, v4
	v_fmac_f32_e32 v5, v6, v3
	v_fma_f32 v0, -v0, v5, v4
	v_div_fmas_f32 v0, v0, v3, v5
	v_div_fixup_f32 v0, v0, v9, v8
	global_store_dword v[1:2], v0, off
.LBB25_24:
	s_endpgm
	.section	.rodata,"a",@progbits
	.p2align	6, 0x0
	.amdhsa_kernel _ZL33flash_attn_stream_k_fixup_generalILi256ELi1ELi1EEvPfPK15HIP_vector_typeIfLj2EEiiiiS1_IjLj3EES5_S5_S5_
		.amdhsa_group_segment_fixed_size 0
		.amdhsa_private_segment_fixed_size 0
		.amdhsa_kernarg_size 336
		.amdhsa_user_sgpr_count 6
		.amdhsa_user_sgpr_private_segment_buffer 1
		.amdhsa_user_sgpr_dispatch_ptr 0
		.amdhsa_user_sgpr_queue_ptr 0
		.amdhsa_user_sgpr_kernarg_segment_ptr 1
		.amdhsa_user_sgpr_dispatch_id 0
		.amdhsa_user_sgpr_flat_scratch_init 0
		.amdhsa_user_sgpr_private_segment_size 0
		.amdhsa_wavefront_size32 1
		.amdhsa_uses_dynamic_stack 0
		.amdhsa_system_sgpr_private_segment_wavefront_offset 0
		.amdhsa_system_sgpr_workgroup_id_x 1
		.amdhsa_system_sgpr_workgroup_id_y 1
		.amdhsa_system_sgpr_workgroup_id_z 1
		.amdhsa_system_sgpr_workgroup_info 0
		.amdhsa_system_vgpr_workitem_id 0
		.amdhsa_next_free_vgpr 17
		.amdhsa_next_free_sgpr 31
		.amdhsa_reserve_vcc 1
		.amdhsa_reserve_flat_scratch 0
		.amdhsa_float_round_mode_32 0
		.amdhsa_float_round_mode_16_64 0
		.amdhsa_float_denorm_mode_32 3
		.amdhsa_float_denorm_mode_16_64 3
		.amdhsa_dx10_clamp 1
		.amdhsa_ieee_mode 1
		.amdhsa_fp16_overflow 0
		.amdhsa_workgroup_processor_mode 1
		.amdhsa_memory_ordered 1
		.amdhsa_forward_progress 1
		.amdhsa_shared_vgpr_count 0
		.amdhsa_exception_fp_ieee_invalid_op 0
		.amdhsa_exception_fp_denorm_src 0
		.amdhsa_exception_fp_ieee_div_zero 0
		.amdhsa_exception_fp_ieee_overflow 0
		.amdhsa_exception_fp_ieee_underflow 0
		.amdhsa_exception_fp_ieee_inexact 0
		.amdhsa_exception_int_div_zero 0
	.end_amdhsa_kernel
	.section	.text._ZL33flash_attn_stream_k_fixup_generalILi256ELi1ELi1EEvPfPK15HIP_vector_typeIfLj2EEiiiiS1_IjLj3EES5_S5_S5_,"axG",@progbits,_ZL33flash_attn_stream_k_fixup_generalILi256ELi1ELi1EEvPfPK15HIP_vector_typeIfLj2EEiiiiS1_IjLj3EES5_S5_S5_,comdat
.Lfunc_end25:
	.size	_ZL33flash_attn_stream_k_fixup_generalILi256ELi1ELi1EEvPfPK15HIP_vector_typeIfLj2EEiiiiS1_IjLj3EES5_S5_S5_, .Lfunc_end25-_ZL33flash_attn_stream_k_fixup_generalILi256ELi1ELi1EEvPfPK15HIP_vector_typeIfLj2EEiiiiS1_IjLj3EES5_S5_S5_
                                        ; -- End function
	.set _ZL33flash_attn_stream_k_fixup_generalILi256ELi1ELi1EEvPfPK15HIP_vector_typeIfLj2EEiiiiS1_IjLj3EES5_S5_S5_.num_vgpr, 17
	.set _ZL33flash_attn_stream_k_fixup_generalILi256ELi1ELi1EEvPfPK15HIP_vector_typeIfLj2EEiiiiS1_IjLj3EES5_S5_S5_.num_agpr, 0
	.set _ZL33flash_attn_stream_k_fixup_generalILi256ELi1ELi1EEvPfPK15HIP_vector_typeIfLj2EEiiiiS1_IjLj3EES5_S5_S5_.numbered_sgpr, 31
	.set _ZL33flash_attn_stream_k_fixup_generalILi256ELi1ELi1EEvPfPK15HIP_vector_typeIfLj2EEiiiiS1_IjLj3EES5_S5_S5_.num_named_barrier, 0
	.set _ZL33flash_attn_stream_k_fixup_generalILi256ELi1ELi1EEvPfPK15HIP_vector_typeIfLj2EEiiiiS1_IjLj3EES5_S5_S5_.private_seg_size, 0
	.set _ZL33flash_attn_stream_k_fixup_generalILi256ELi1ELi1EEvPfPK15HIP_vector_typeIfLj2EEiiiiS1_IjLj3EES5_S5_S5_.uses_vcc, 1
	.set _ZL33flash_attn_stream_k_fixup_generalILi256ELi1ELi1EEvPfPK15HIP_vector_typeIfLj2EEiiiiS1_IjLj3EES5_S5_S5_.uses_flat_scratch, 0
	.set _ZL33flash_attn_stream_k_fixup_generalILi256ELi1ELi1EEvPfPK15HIP_vector_typeIfLj2EEiiiiS1_IjLj3EES5_S5_S5_.has_dyn_sized_stack, 0
	.set _ZL33flash_attn_stream_k_fixup_generalILi256ELi1ELi1EEvPfPK15HIP_vector_typeIfLj2EEiiiiS1_IjLj3EES5_S5_S5_.has_recursion, 0
	.set _ZL33flash_attn_stream_k_fixup_generalILi256ELi1ELi1EEvPfPK15HIP_vector_typeIfLj2EEiiiiS1_IjLj3EES5_S5_S5_.has_indirect_call, 0
	.section	.AMDGPU.csdata,"",@progbits
; Kernel info:
; codeLenInByte = 2900
; TotalNumSgprs: 33
; NumVgprs: 17
; ScratchSize: 0
; MemoryBound: 0
; FloatMode: 240
; IeeeMode: 1
; LDSByteSize: 0 bytes/workgroup (compile time only)
; SGPRBlocks: 0
; VGPRBlocks: 2
; NumSGPRsForWavesPerEU: 33
; NumVGPRsForWavesPerEU: 17
; Occupancy: 16
; WaveLimiterHint : 0
; COMPUTE_PGM_RSRC2:SCRATCH_EN: 0
; COMPUTE_PGM_RSRC2:USER_SGPR: 6
; COMPUTE_PGM_RSRC2:TRAP_HANDLER: 0
; COMPUTE_PGM_RSRC2:TGID_X_EN: 1
; COMPUTE_PGM_RSRC2:TGID_Y_EN: 1
; COMPUTE_PGM_RSRC2:TGID_Z_EN: 1
; COMPUTE_PGM_RSRC2:TIDIG_COMP_CNT: 0
	.section	.text._ZL26flash_attn_combine_resultsILi256EEvPKfPK15HIP_vector_typeIfLj2EEPfi,"axG",@progbits,_ZL26flash_attn_combine_resultsILi256EEvPKfPK15HIP_vector_typeIfLj2EEPfi,comdat
	.globl	_ZL26flash_attn_combine_resultsILi256EEvPKfPK15HIP_vector_typeIfLj2EEPfi ; -- Begin function _ZL26flash_attn_combine_resultsILi256EEvPKfPK15HIP_vector_typeIfLj2EEPfi
	.p2align	8
	.type	_ZL26flash_attn_combine_resultsILi256EEvPKfPK15HIP_vector_typeIfLj2EEPfi,@function
_ZL26flash_attn_combine_resultsILi256EEvPKfPK15HIP_vector_typeIfLj2EEPfi: ; @_ZL26flash_attn_combine_resultsILi256EEvPKfPK15HIP_vector_typeIfLj2EEPfi
; %bb.0:
	s_clause 0x3
	s_load_dwordx2 s[2:3], s[4:5], 0x20
	s_load_dword s9, s[4:5], 0x18
	s_load_dwordx4 s[12:15], s[4:5], 0x0
	s_load_dwordx2 s[10:11], s[4:5], 0x10
	v_lshlrev_b32_e32 v5, 2, v0
	s_mov_b32 s4, exec_lo
	s_waitcnt lgkmcnt(0)
	s_mul_i32 s0, s2, s8
	s_lshl_b32 s1, s9, 1
	s_add_i32 s0, s0, s6
	s_mul_i32 s6, s0, s3
	s_add_i32 s6, s6, s7
	s_mul_i32 s2, s6, s9
	v_cmpx_gt_i32_e64 s1, v0
	s_cbranch_execz .LBB26_3
; %bb.1:
	s_ashr_i32 s3, s2, 31
	v_add_nc_u32_e32 v3, 0, v5
	s_lshl_b64 s[16:17], s[2:3], 3
	v_mov_b32_e32 v4, v0
	s_add_u32 s0, s14, s16
	s_addc_u32 s3, s15, s17
	v_add_co_u32 v1, s0, s0, v5
	v_add_co_ci_u32_e64 v2, null, s3, 0, s0
	s_mov_b32 s3, 0
	.p2align	6
.LBB26_2:                               ; =>This Inner Loop Header: Depth=1
	global_load_dword v6, v[1:2], off
	v_add_nc_u32_e32 v4, 0x100, v4
	v_add_co_u32 v1, vcc_lo, 0x400, v1
	v_add_co_ci_u32_e64 v2, null, 0, v2, vcc_lo
	v_cmp_le_i32_e64 s0, s1, v4
	s_or_b32 s3, s0, s3
	s_waitcnt vmcnt(0)
	ds_write_b32 v3, v6
	v_add_nc_u32_e32 v3, 0x400, v3
	s_andn2_b32 exec_lo, exec_lo, s3
	s_cbranch_execnz .LBB26_2
.LBB26_3:
	s_or_b32 exec_lo, exec_lo, s4
	v_mov_b32_e32 v1, 0
	s_waitcnt lgkmcnt(0)
	s_barrier
	buffer_gl0_inv
	s_cmp_lt_i32 s9, 2
	ds_read_b32 v6, v1
	s_cbranch_scc1 .LBB26_11
; %bb.4:
	s_add_i32 s1, s9, -2
	s_add_i32 s0, s9, -1
	s_cmp_lt_u32 s1, 7
	s_cbranch_scc1 .LBB26_8
; %bb.5:
	s_mov_b32 s3, 0
	s_add_i32 s1, 0, 8
	s_and_b32 s4, s0, -8
	.p2align	6
.LBB26_6:                               ; =>This Inner Loop Header: Depth=1
	v_mov_b32_e32 v9, s1
	s_mov_b32 s5, s3
	s_add_i32 s3, s3, 8
	s_add_i32 s1, s1, 64
	s_cmp_eq_u32 s4, s3
	ds_read2_b32 v[1:2], v9 offset1:2
	ds_read2_b32 v[3:4], v9 offset0:4 offset1:6
	ds_read2_b32 v[7:8], v9 offset0:8 offset1:10
	;; [unrolled: 1-line block ×3, first 2 shown]
	s_waitcnt lgkmcnt(3)
	v_max3_f32 v1, v6, v1, v2
	s_waitcnt lgkmcnt(2)
	v_max3_f32 v1, v1, v3, v4
	s_waitcnt lgkmcnt(1)
	v_max3_f32 v1, v1, v7, v8
	s_waitcnt lgkmcnt(0)
	v_max3_f32 v6, v1, v9, v10
	s_cbranch_scc0 .LBB26_6
; %bb.7:
	s_add_i32 s1, s5, 9
	s_and_b32 s0, s0, 7
	s_cmp_eq_u32 s0, 0
	s_cbranch_scc0 .LBB26_9
	s_branch .LBB26_11
.LBB26_8:
	s_mov_b32 s1, 1
	s_and_b32 s0, s0, 7
	s_cmp_eq_u32 s0, 0
	s_cbranch_scc1 .LBB26_11
.LBB26_9:
	s_lshl_b32 s1, s1, 3
	s_add_i32 s1, s1, 0
.LBB26_10:                              ; =>This Inner Loop Header: Depth=1
	v_mov_b32_e32 v1, s1
	s_waitcnt lgkmcnt(0)
	v_max_f32_e32 v2, v6, v6
	s_add_i32 s0, s0, -1
	s_add_i32 s1, s1, 8
	s_cmp_lg_u32 s0, 0
	ds_read_b32 v1, v1
	s_waitcnt lgkmcnt(0)
	v_max_f32_e32 v1, v1, v1
	v_max_f32_e32 v6, v2, v1
	s_cbranch_scc1 .LBB26_10
.LBB26_11:
	s_cmp_lt_i32 s9, 1
	s_cbranch_scc1 .LBB26_16
; %bb.12:
	s_lshl_b32 s0, s2, 8
	s_ashr_i32 s1, s0, 31
	s_lshl_b64 s[0:1], s[0:1], 2
	s_add_u32 s7, s12, s0
	s_addc_u32 s8, s13, s1
	s_cmp_lt_u32 s9, 8
	s_cbranch_scc1 .LBB26_17
; %bb.13:
	v_or_b32_e32 v1, 0x700, v0
	v_mov_b32_e32 v4, 0
	v_mov_b32_e32 v7, 0
	v_mov_b32_e32 v8, 0
	s_and_b32 s12, s9, 0x7ffffff8
	s_mov_b32 s13, 0
	s_mov_b32 s14, 0
.LBB26_14:                              ; =>This Inner Loop Header: Depth=1
	v_add_nc_u32_e32 v3, 0xfffff900, v1
	v_mov_b32_e32 v2, v4
	v_mov_b32_e32 v21, s14
	s_add_i32 s13, s13, 8
	s_add_i32 s14, s14, 64
	v_lshlrev_b64 v[9:10], 2, v[3:4]
	v_add_nc_u32_e32 v3, 0xfffffa00, v1
	v_lshlrev_b64 v[11:12], 2, v[1:2]
	s_cmp_eq_u32 s12, s13
	v_lshlrev_b64 v[13:14], 2, v[3:4]
	v_add_nc_u32_e32 v3, 0xfffffb00, v1
	v_add_co_u32 v9, vcc_lo, s7, v9
	v_add_co_ci_u32_e64 v10, null, s8, v10, vcc_lo
	v_add_co_u32 v13, vcc_lo, s7, v13
	v_lshlrev_b64 v[15:16], 2, v[3:4]
	v_add_nc_u32_e32 v3, 0xfffffc00, v1
	v_add_co_ci_u32_e64 v14, null, s8, v14, vcc_lo
	s_clause 0x1
	global_load_dword v25, v[9:10], off
	global_load_dword v26, v[13:14], off
	v_lshlrev_b64 v[9:10], 2, v[3:4]
	v_add_nc_u32_e32 v3, 0xfffffd00, v1
	v_add_co_u32 v13, vcc_lo, s7, v15
	v_add_co_ci_u32_e64 v14, null, s8, v16, vcc_lo
	v_add_co_u32 v9, vcc_lo, s7, v9
	v_lshlrev_b64 v[15:16], 2, v[3:4]
	v_add_nc_u32_e32 v3, 0xfffffe00, v1
	v_add_co_ci_u32_e64 v10, null, s8, v10, vcc_lo
	s_clause 0x1
	global_load_dword v27, v[13:14], off
	global_load_dword v28, v[9:10], off
	v_lshlrev_b64 v[13:14], 2, v[3:4]
	v_add_nc_u32_e32 v3, 0xffffff00, v1
	v_add_co_u32 v9, vcc_lo, s7, v15
	v_add_co_ci_u32_e64 v10, null, s8, v16, vcc_lo
	v_add_co_u32 v13, vcc_lo, s7, v13
	v_lshlrev_b64 v[2:3], 2, v[3:4]
	v_add_co_ci_u32_e64 v14, null, s8, v14, vcc_lo
	s_clause 0x1
	global_load_dword v29, v[9:10], off
	global_load_dword v30, v[13:14], off
	v_add_co_u32 v2, vcc_lo, s7, v2
	v_add_co_ci_u32_e64 v3, null, s8, v3, vcc_lo
	v_add_co_u32 v9, vcc_lo, s7, v11
	v_add_co_ci_u32_e64 v10, null, s8, v12, vcc_lo
	s_clause 0x1
	global_load_dword v2, v[2:3], off
	global_load_dword v3, v[9:10], off
	ds_read2_b64 v[9:12], v21 offset1:1
	ds_read2_b64 v[13:16], v21 offset0:2 offset1:3
	ds_read2_b64 v[17:20], v21 offset0:4 offset1:5
	;; [unrolled: 1-line block ×3, first 2 shown]
	v_add_nc_u32_e32 v1, 0x800, v1
	s_waitcnt lgkmcnt(3)
	v_sub_f32_e32 v9, v9, v6
	v_sub_f32_e32 v11, v11, v6
	s_waitcnt lgkmcnt(2)
	v_sub_f32_e32 v13, v13, v6
	v_sub_f32_e32 v15, v15, v6
	s_waitcnt lgkmcnt(1)
	v_sub_f32_e32 v17, v17, v6
	v_mul_f32_e32 v31, 0x3fb8aa3b, v9
	v_mul_f32_e32 v32, 0x3fb8aa3b, v11
	;; [unrolled: 1-line block ×4, first 2 shown]
	v_sub_f32_e32 v19, v19, v6
	v_fma_f32 v39, 0x3fb8aa3b, v9, -v31
	v_rndne_f32_e32 v40, v31
	v_fma_f32 v41, 0x3fb8aa3b, v11, -v32
	v_rndne_f32_e32 v42, v32
	v_fma_f32 v43, 0x3fb8aa3b, v13, -v33
	v_fmac_f32_e32 v39, 0x32a5705f, v9
	v_sub_f32_e32 v31, v31, v40
	v_rndne_f32_e32 v44, v33
	v_fmac_f32_e32 v41, 0x32a5705f, v11
	v_sub_f32_e32 v32, v32, v42
	v_fmac_f32_e32 v43, 0x32a5705f, v13
	v_add_f32_e32 v31, v31, v39
	v_sub_f32_e32 v33, v33, v44
	v_mul_f32_e32 v35, 0x3fb8aa3b, v17
	v_add_f32_e32 v32, v32, v41
	v_fma_f32 v45, 0x3fb8aa3b, v15, -v34
	v_exp_f32_e32 v31, v31
	v_rndne_f32_e32 v46, v34
	v_add_f32_e32 v33, v33, v43
	v_cvt_i32_f32_e32 v40, v40
	v_exp_f32_e32 v32, v32
	s_waitcnt lgkmcnt(0)
	v_sub_f32_e32 v21, v21, v6
	v_mul_f32_e32 v36, 0x3fb8aa3b, v19
	v_fma_f32 v47, 0x3fb8aa3b, v17, -v35
	v_rndne_f32_e32 v48, v35
	v_cvt_i32_f32_e32 v42, v42
	v_fmac_f32_e32 v45, 0x32a5705f, v15
	v_sub_f32_e32 v34, v34, v46
	v_exp_f32_e32 v33, v33
	v_ldexp_f32 v31, v31, v40
	v_cmp_ngt_f32_e64 s5, 0xc2ce8ed0, v9
	v_sub_f32_e32 v23, v23, v6
	v_mul_f32_e32 v37, 0x3fb8aa3b, v21
	v_fma_f32 v49, 0x3fb8aa3b, v19, -v36
	v_rndne_f32_e32 v50, v36
	v_cvt_i32_f32_e32 v44, v44
	v_fmac_f32_e32 v47, 0x32a5705f, v17
	v_sub_f32_e32 v35, v35, v48
	v_add_f32_e32 v34, v34, v45
	v_ldexp_f32 v32, v32, v42
	v_cndmask_b32_e64 v31, 0, v31, s5
	v_cmp_ngt_f32_e64 s5, 0xc2ce8ed0, v11
	v_mul_f32_e32 v38, 0x3fb8aa3b, v23
	v_fma_f32 v51, 0x3fb8aa3b, v21, -v37
	v_rndne_f32_e32 v39, v37
	v_fmac_f32_e32 v49, 0x32a5705f, v19
	v_sub_f32_e32 v36, v36, v50
	v_add_f32_e32 v35, v35, v47
	v_exp_f32_e32 v34, v34
	v_ldexp_f32 v33, v33, v44
	v_cmp_ngt_f32_e32 vcc_lo, 0xc2ce8ed0, v13
	v_cndmask_b32_e64 v32, 0, v32, s5
	v_cmp_nlt_f32_e64 s5, 0x42b17218, v9
	v_fma_f32 v41, 0x3fb8aa3b, v23, -v38
	v_rndne_f32_e32 v43, v38
	v_cvt_i32_f32_e32 v46, v46
	v_fmac_f32_e32 v51, 0x32a5705f, v21
	v_sub_f32_e32 v37, v37, v39
	v_add_f32_e32 v36, v36, v49
	v_exp_f32_e32 v35, v35
	v_cndmask_b32_e64 v9, 0x7f800000, v31, s5
	v_cndmask_b32_e32 v31, 0, v33, vcc_lo
	v_cmp_nlt_f32_e32 vcc_lo, 0x42b17218, v11
	v_cvt_i32_f32_e32 v48, v48
	v_fmac_f32_e32 v41, 0x32a5705f, v23
	v_sub_f32_e32 v38, v38, v43
	v_add_f32_e32 v37, v37, v51
	v_exp_f32_e32 v36, v36
	v_ldexp_f32 v34, v34, v46
	v_cmp_ngt_f32_e64 s0, 0xc2ce8ed0, v15
	v_cndmask_b32_e32 v11, 0x7f800000, v32, vcc_lo
	v_fmac_f32_e32 v8, v9, v10
	v_cmp_nlt_f32_e32 vcc_lo, 0x42b17218, v13
	v_cvt_i32_f32_e32 v50, v50
	v_add_f32_e32 v38, v38, v41
	v_exp_f32_e32 v37, v37
	v_ldexp_f32 v35, v35, v48
	v_cmp_ngt_f32_e64 s1, 0xc2ce8ed0, v17
	v_cndmask_b32_e32 v10, 0x7f800000, v31, vcc_lo
	v_fmac_f32_e32 v8, v11, v12
	v_cmp_nlt_f32_e32 vcc_lo, 0x42b17218, v15
	v_cvt_i32_f32_e32 v39, v39
	v_exp_f32_e32 v38, v38
	v_ldexp_f32 v36, v36, v50
	v_cmp_ngt_f32_e64 s2, 0xc2ce8ed0, v19
	v_fmac_f32_e32 v8, v10, v14
	v_cvt_i32_f32_e32 v43, v43
	v_ldexp_f32 v37, v37, v39
	v_cmp_ngt_f32_e64 s3, 0xc2ce8ed0, v21
	v_cmp_ngt_f32_e64 s4, 0xc2ce8ed0, v23
	v_ldexp_f32 v38, v38, v43
	s_waitcnt vmcnt(7)
	v_fmac_f32_e32 v7, v25, v9
	v_cndmask_b32_e64 v9, 0, v34, s0
	s_waitcnt vmcnt(6)
	v_fmac_f32_e32 v7, v26, v11
	v_cndmask_b32_e64 v11, 0, v35, s1
	v_cndmask_b32_e32 v9, 0x7f800000, v9, vcc_lo
	v_cmp_nlt_f32_e32 vcc_lo, 0x42b17218, v17
	v_fmac_f32_e32 v8, v9, v16
	v_cndmask_b32_e32 v11, 0x7f800000, v11, vcc_lo
	v_cmp_nlt_f32_e32 vcc_lo, 0x42b17218, v19
	s_waitcnt vmcnt(5)
	v_fmac_f32_e32 v7, v27, v10
	v_cndmask_b32_e64 v10, 0, v36, s2
	v_fmac_f32_e32 v8, v11, v18
	s_waitcnt vmcnt(4)
	v_fmac_f32_e32 v7, v28, v9
	v_cndmask_b32_e64 v9, 0, v37, s3
	v_cndmask_b32_e32 v10, 0x7f800000, v10, vcc_lo
	v_cmp_nlt_f32_e32 vcc_lo, 0x42b17218, v21
	v_fmac_f32_e32 v8, v10, v20
	v_cndmask_b32_e32 v9, 0x7f800000, v9, vcc_lo
	v_cmp_nlt_f32_e32 vcc_lo, 0x42b17218, v23
	s_waitcnt vmcnt(3)
	v_fmac_f32_e32 v7, v29, v11
	v_cndmask_b32_e64 v11, 0, v38, s4
	v_fmac_f32_e32 v8, v9, v22
	s_waitcnt vmcnt(2)
	v_fmac_f32_e32 v7, v30, v10
	v_cndmask_b32_e32 v10, 0x7f800000, v11, vcc_lo
	s_waitcnt vmcnt(1)
	v_fmac_f32_e32 v7, v2, v9
	v_fmac_f32_e32 v8, v10, v24
	s_waitcnt vmcnt(0)
	v_fmac_f32_e32 v7, v3, v10
	s_cbranch_scc0 .LBB26_14
; %bb.15:
	s_and_b32 s0, s9, 7
	s_cmp_eq_u32 s0, 0
	s_cbranch_scc0 .LBB26_18
	s_branch .LBB26_20
.LBB26_16:
	v_mov_b32_e32 v0, 0x7fc00000
	s_branch .LBB26_21
.LBB26_17:
	v_mov_b32_e32 v7, 0
	v_mov_b32_e32 v8, 0
	s_mov_b32 s12, 0
	s_and_b32 s0, s9, 7
	s_cmp_eq_u32 s0, 0
	s_cbranch_scc1 .LBB26_20
.LBB26_18:
	v_lshl_or_b32 v0, s12, 8, v0
	v_mov_b32_e32 v1, 0
	s_lshl_b32 s1, s12, 3
	s_add_i32 s1, s1, 0
	s_inst_prefetch 0x1
	.p2align	6
.LBB26_19:                              ; =>This Inner Loop Header: Depth=1
	v_lshlrev_b64 v[2:3], 2, v[0:1]
	v_add_nc_u32_e32 v0, 0x100, v0
	s_add_i32 s0, s0, -1
	v_add_co_u32 v2, vcc_lo, s7, v2
	v_add_co_ci_u32_e64 v3, null, s8, v3, vcc_lo
	global_load_dword v4, v[2:3], off
	v_mov_b32_e32 v2, s1
	s_add_i32 s1, s1, 8
	s_cmp_lg_u32 s0, 0
	ds_read_b64 v[2:3], v2
	s_waitcnt lgkmcnt(0)
	v_sub_f32_e32 v2, v2, v6
	v_mul_f32_e32 v9, 0x3fb8aa3b, v2
	v_cmp_ngt_f32_e32 vcc_lo, 0xc2ce8ed0, v2
	v_fma_f32 v10, 0x3fb8aa3b, v2, -v9
	v_rndne_f32_e32 v11, v9
	v_fmac_f32_e32 v10, 0x32a5705f, v2
	v_sub_f32_e32 v9, v9, v11
	v_add_f32_e32 v9, v9, v10
	v_cvt_i32_f32_e32 v10, v11
	v_exp_f32_e32 v9, v9
	v_ldexp_f32 v9, v9, v10
	v_cndmask_b32_e32 v9, 0, v9, vcc_lo
	v_cmp_nlt_f32_e32 vcc_lo, 0x42b17218, v2
	v_cndmask_b32_e32 v2, 0x7f800000, v9, vcc_lo
	v_fmac_f32_e32 v8, v2, v3
	s_waitcnt vmcnt(0)
	v_fmac_f32_e32 v7, v4, v2
	s_cbranch_scc1 .LBB26_19
.LBB26_20:
	s_inst_prefetch 0x2
	v_div_scale_f32 v0, null, v8, v8, v7
	v_rcp_f32_e32 v1, v0
	v_fma_f32 v2, -v0, v1, 1.0
	v_fmac_f32_e32 v1, v2, v1
	v_div_scale_f32 v2, vcc_lo, v7, v8, v7
	v_mul_f32_e32 v3, v2, v1
	v_fma_f32 v4, -v0, v3, v2
	v_fmac_f32_e32 v3, v4, v1
	v_fma_f32 v0, -v0, v3, v2
	v_div_fmas_f32 v0, v0, v1, v3
	v_div_fixup_f32 v0, v0, v8, v7
.LBB26_21:
	s_lshl_b32 s0, s6, 8
	s_ashr_i32 s1, s0, 31
	s_lshl_b64 s[0:1], s[0:1], 2
	s_add_u32 s0, s10, s0
	s_addc_u32 s1, s11, s1
	global_store_dword v5, v0, s[0:1]
	s_endpgm
	.section	.rodata,"a",@progbits
	.p2align	6, 0x0
	.amdhsa_kernel _ZL26flash_attn_combine_resultsILi256EEvPKfPK15HIP_vector_typeIfLj2EEPfi
		.amdhsa_group_segment_fixed_size 0
		.amdhsa_private_segment_fixed_size 0
		.amdhsa_kernarg_size 288
		.amdhsa_user_sgpr_count 6
		.amdhsa_user_sgpr_private_segment_buffer 1
		.amdhsa_user_sgpr_dispatch_ptr 0
		.amdhsa_user_sgpr_queue_ptr 0
		.amdhsa_user_sgpr_kernarg_segment_ptr 1
		.amdhsa_user_sgpr_dispatch_id 0
		.amdhsa_user_sgpr_flat_scratch_init 0
		.amdhsa_user_sgpr_private_segment_size 0
		.amdhsa_wavefront_size32 1
		.amdhsa_uses_dynamic_stack 0
		.amdhsa_system_sgpr_private_segment_wavefront_offset 0
		.amdhsa_system_sgpr_workgroup_id_x 1
		.amdhsa_system_sgpr_workgroup_id_y 1
		.amdhsa_system_sgpr_workgroup_id_z 1
		.amdhsa_system_sgpr_workgroup_info 0
		.amdhsa_system_vgpr_workitem_id 0
		.amdhsa_next_free_vgpr 52
		.amdhsa_next_free_sgpr 18
		.amdhsa_reserve_vcc 1
		.amdhsa_reserve_flat_scratch 0
		.amdhsa_float_round_mode_32 0
		.amdhsa_float_round_mode_16_64 0
		.amdhsa_float_denorm_mode_32 3
		.amdhsa_float_denorm_mode_16_64 3
		.amdhsa_dx10_clamp 1
		.amdhsa_ieee_mode 1
		.amdhsa_fp16_overflow 0
		.amdhsa_workgroup_processor_mode 1
		.amdhsa_memory_ordered 1
		.amdhsa_forward_progress 1
		.amdhsa_shared_vgpr_count 0
		.amdhsa_exception_fp_ieee_invalid_op 0
		.amdhsa_exception_fp_denorm_src 0
		.amdhsa_exception_fp_ieee_div_zero 0
		.amdhsa_exception_fp_ieee_overflow 0
		.amdhsa_exception_fp_ieee_underflow 0
		.amdhsa_exception_fp_ieee_inexact 0
		.amdhsa_exception_int_div_zero 0
	.end_amdhsa_kernel
	.section	.text._ZL26flash_attn_combine_resultsILi256EEvPKfPK15HIP_vector_typeIfLj2EEPfi,"axG",@progbits,_ZL26flash_attn_combine_resultsILi256EEvPKfPK15HIP_vector_typeIfLj2EEPfi,comdat
.Lfunc_end26:
	.size	_ZL26flash_attn_combine_resultsILi256EEvPKfPK15HIP_vector_typeIfLj2EEPfi, .Lfunc_end26-_ZL26flash_attn_combine_resultsILi256EEvPKfPK15HIP_vector_typeIfLj2EEPfi
                                        ; -- End function
	.set _ZL26flash_attn_combine_resultsILi256EEvPKfPK15HIP_vector_typeIfLj2EEPfi.num_vgpr, 52
	.set _ZL26flash_attn_combine_resultsILi256EEvPKfPK15HIP_vector_typeIfLj2EEPfi.num_agpr, 0
	.set _ZL26flash_attn_combine_resultsILi256EEvPKfPK15HIP_vector_typeIfLj2EEPfi.numbered_sgpr, 18
	.set _ZL26flash_attn_combine_resultsILi256EEvPKfPK15HIP_vector_typeIfLj2EEPfi.num_named_barrier, 0
	.set _ZL26flash_attn_combine_resultsILi256EEvPKfPK15HIP_vector_typeIfLj2EEPfi.private_seg_size, 0
	.set _ZL26flash_attn_combine_resultsILi256EEvPKfPK15HIP_vector_typeIfLj2EEPfi.uses_vcc, 1
	.set _ZL26flash_attn_combine_resultsILi256EEvPKfPK15HIP_vector_typeIfLj2EEPfi.uses_flat_scratch, 0
	.set _ZL26flash_attn_combine_resultsILi256EEvPKfPK15HIP_vector_typeIfLj2EEPfi.has_dyn_sized_stack, 0
	.set _ZL26flash_attn_combine_resultsILi256EEvPKfPK15HIP_vector_typeIfLj2EEPfi.has_recursion, 0
	.set _ZL26flash_attn_combine_resultsILi256EEvPKfPK15HIP_vector_typeIfLj2EEPfi.has_indirect_call, 0
	.section	.AMDGPU.csdata,"",@progbits
; Kernel info:
; codeLenInByte = 2264
; TotalNumSgprs: 20
; NumVgprs: 52
; ScratchSize: 0
; MemoryBound: 0
; FloatMode: 240
; IeeeMode: 1
; LDSByteSize: 0 bytes/workgroup (compile time only)
; SGPRBlocks: 0
; VGPRBlocks: 6
; NumSGPRsForWavesPerEU: 20
; NumVGPRsForWavesPerEU: 52
; Occupancy: 16
; WaveLimiterHint : 0
; COMPUTE_PGM_RSRC2:SCRATCH_EN: 0
; COMPUTE_PGM_RSRC2:USER_SGPR: 6
; COMPUTE_PGM_RSRC2:TRAP_HANDLER: 0
; COMPUTE_PGM_RSRC2:TGID_X_EN: 1
; COMPUTE_PGM_RSRC2:TGID_Y_EN: 1
; COMPUTE_PGM_RSRC2:TGID_Z_EN: 1
; COMPUTE_PGM_RSRC2:TIDIG_COMP_CNT: 0
	.section	.text._ZL18flash_attn_ext_vecILi256ELi1EL9ggml_type2ELS0_2ELb1EEvPKcS2_S2_S2_S2_PKiPfP15HIP_vector_typeIfLj2EEffffjfiS6_IjLj3EEiiiiiiiiiiiliiliiiiil,"axG",@progbits,_ZL18flash_attn_ext_vecILi256ELi1EL9ggml_type2ELS0_2ELb1EEvPKcS2_S2_S2_S2_PKiPfP15HIP_vector_typeIfLj2EEffffjfiS6_IjLj3EEiiiiiiiiiiiliiliiiiil,comdat
	.globl	_ZL18flash_attn_ext_vecILi256ELi1EL9ggml_type2ELS0_2ELb1EEvPKcS2_S2_S2_S2_PKiPfP15HIP_vector_typeIfLj2EEffffjfiS6_IjLj3EEiiiiiiiiiiiliiliiiiil ; -- Begin function _ZL18flash_attn_ext_vecILi256ELi1EL9ggml_type2ELS0_2ELb1EEvPKcS2_S2_S2_S2_PKiPfP15HIP_vector_typeIfLj2EEffffjfiS6_IjLj3EEiiiiiiiiiiiliiliiiiil
	.p2align	8
	.type	_ZL18flash_attn_ext_vecILi256ELi1EL9ggml_type2ELS0_2ELb1EEvPKcS2_S2_S2_S2_PKiPfP15HIP_vector_typeIfLj2EEffffjfiS6_IjLj3EEiiiiiiiiiiiliiliiiiil,@function
_ZL18flash_attn_ext_vecILi256ELi1EL9ggml_type2ELS0_2ELb1EEvPKcS2_S2_S2_S2_PKiPfP15HIP_vector_typeIfLj2EEffffjfiS6_IjLj3EEiiiiiiiiiiiliiliiiiil: ; @_ZL18flash_attn_ext_vecILi256ELi1EL9ggml_type2ELS0_2ELb1EEvPKcS2_S2_S2_S2_PKiPfP15HIP_vector_typeIfLj2EEffffjfiS6_IjLj3EEiiiiiiiiiiiliiliiiiil
; %bb.0:
	s_clause 0x2
	s_load_dwordx2 s[80:81], s[4:5], 0x64
	s_load_dwordx2 s[84:85], s[4:5], 0x80
	;; [unrolled: 1-line block ×3, first 2 shown]
	v_mov_b32_e32 v33, v0
	s_mov_b64 s[98:99], s[2:3]
	s_mov_b64 s[96:97], s[0:1]
	v_mov_b32_e32 v32, v1
	s_add_u32 s96, s96, s9
	s_addc_u32 s97, s97, 0
	v_mov_b32_e32 v2, 1.0
	s_load_dwordx2 s[86:87], s[4:5], 0x50
	buffer_store_dword v2, off, s[96:99], 0 offset:604 ; 4-byte Folded Spill
	s_waitcnt lgkmcnt(0)
	v_cvt_f32_u32_e32 v0, s81
	s_sub_i32 s1, 0, s81
	v_rcp_iflag_f32_e32 v0, v0
	v_mul_f32_e32 v0, 0x4f7ffffe, v0
	v_cvt_u32_f32_e32 v0, v0
	v_readfirstlane_b32 s0, v0
	s_mul_i32 s1, s1, s0
	s_mul_hi_u32 s1, s0, s1
	s_add_i32 s0, s0, s1
	s_mul_hi_u32 s0, s8, s0
	s_mul_i32 s1, s0, s81
	s_add_i32 s2, s0, 1
	s_sub_i32 s1, s8, s1
	s_sub_i32 s3, s1, s81
	s_cmp_ge_u32 s1, s81
	s_cselect_b32 s0, s2, s0
	s_cselect_b32 s1, s3, s1
	s_add_i32 s2, s0, 1
	s_cmp_ge_u32 s1, s81
	s_cselect_b32 s92, s2, s0
	s_abs_i32 s0, s85
	s_abs_i32 s9, s81
	v_cvt_f32_u32_e32 v0, s0
	s_sub_i32 s2, 0, s0
	s_xor_b32 s3, s81, s85
	s_ashr_i32 s3, s3, 31
	v_rcp_iflag_f32_e32 v0, v0
	v_mul_f32_e32 v0, 0x4f7ffffe, v0
	v_cvt_u32_f32_e32 v0, v0
	v_readfirstlane_b32 s1, v0
	s_mul_i32 s2, s2, s1
	s_mul_hi_u32 s2, s1, s2
	s_add_i32 s1, s1, s2
	s_mul_i32 s2, s92, s81
	s_mul_hi_u32 s1, s9, s1
	s_sub_i32 s82, s8, s2
	s_mul_i32 s10, s1, s0
	s_add_i32 s8, s1, 1
	s_sub_i32 s2, s9, s10
	s_sub_i32 s9, s2, s0
	s_cmp_ge_u32 s2, s0
	s_cselect_b32 s1, s8, s1
	s_cselect_b32 s2, s9, s2
	s_add_i32 s8, s1, 1
	s_cmp_ge_u32 s2, s0
	s_cselect_b32 s0, s8, s1
	s_abs_i32 s12, s12
	s_xor_b32 s0, s0, s3
	v_cvt_f32_u32_e32 v0, s12
	s_sub_i32 s17, s0, s3
	s_load_dwordx4 s[8:11], s[4:5], 0x40
	s_abs_i32 s14, s17
	s_abs_i32 s16, s82
	v_cvt_f32_u32_e32 v1, s14
	v_rcp_iflag_f32_e32 v0, v0
	s_sub_i32 s1, 0, s14
	s_abs_i32 s15, s92
	v_rcp_iflag_f32_e32 v1, v1
	v_mul_f32_e32 v0, 0x4f7ffffe, v0
	v_mul_f32_e32 v1, 0x4f7ffffe, v1
	v_cvt_u32_f32_e32 v0, v0
	s_waitcnt lgkmcnt(0)
	v_cmp_le_f32_e64 s0, s9, 0
	v_cvt_u32_f32_e32 v1, v1
	v_readfirstlane_b32 s3, v0
	s_and_b32 vcc_lo, exec_lo, s0
	s_sub_i32 s0, 0, s12
	v_readfirstlane_b32 s9, v1
	s_mul_i32 s0, s0, s3
	s_mul_hi_u32 s0, s3, s0
	s_mul_i32 s1, s1, s9
	s_add_i32 s3, s3, s0
	s_mul_hi_u32 s1, s9, s1
	s_add_i32 s9, s9, s1
	s_cbranch_vccnz .LBB27_2
; %bb.1:
	v_sub_co_u32 v1, vcc_lo, s82, s86
	v_mov_b32_e32 v0, s10
	s_add_i32 s0, s82, 1
	v_lshlrev_b32_e32 v1, 1, v1
	v_cndmask_b32_e32 v0, s11, v0, vcc_lo
	v_or_b32_e32 v1, 1, v1
	v_cndmask_b32_e64 v1, v1, s0, vcc_lo
	v_cmp_neq_f32_e32 vcc_lo, 1.0, v0
	s_mov_b32 s0, 0x3e76c4e1
	v_cvt_f32_i32_e32 v1, v1
	v_cndmask_b32_e32 v2, 1.0, v1, vcc_lo
	v_cmp_neq_f32_e32 vcc_lo, 0, v2
	v_cndmask_b32_e32 v3, 1.0, v0, vcc_lo
	v_frexp_mant_f32_e64 v0, |v3|
	v_cmp_eq_f32_e64 s2, 0, v3
	v_cmp_gt_f32_e32 vcc_lo, 0x3f2aaaab, v0
	v_cndmask_b32_e64 v1, 1.0, 2.0, vcc_lo
	v_mul_f32_e32 v0, v0, v1
	v_add_f32_e32 v1, 1.0, v0
	v_add_f32_e32 v5, -1.0, v0
	v_rcp_f32_e32 v4, v1
	v_add_f32_e32 v7, -1.0, v1
	v_sub_f32_e32 v0, v0, v7
	v_mul_f32_e32 v6, v5, v4
	v_mul_f32_e32 v8, v1, v6
	v_fma_f32 v1, v6, v1, -v8
	v_fmac_f32_e32 v1, v6, v0
	v_add_f32_e32 v0, v8, v1
	v_sub_f32_e32 v7, v5, v0
	v_sub_f32_e32 v8, v0, v8
	;; [unrolled: 1-line block ×5, first 2 shown]
	v_add_f32_e32 v0, v1, v0
	v_add_f32_e32 v0, v7, v0
	v_mul_f32_e32 v0, v4, v0
	v_add_f32_e32 v4, v6, v0
	v_sub_f32_e32 v1, v4, v6
	v_mul_f32_e32 v5, v4, v4
	v_sub_f32_e32 v6, v0, v1
	v_fma_f32 v0, v4, v4, -v5
	v_add_f32_e32 v1, v6, v6
	v_fmac_f32_e32 v0, v4, v1
	v_add_f32_e32 v7, v5, v0
	v_fmaak_f32 v1, s0, v7, 0x3e91f4c4
	v_sub_f32_e32 v5, v7, v5
	v_mul_f32_e32 v12, v4, v7
	v_fmaak_f32 v1, v7, v1, 0x3ecccdef
	v_sub_f32_e32 v5, v0, v5
	v_fma_f32 v13, v7, v4, -v12
	v_mul_f32_e32 v8, v7, v1
	v_fmac_f32_e32 v13, v7, v6
	v_ldexp_f32 v6, v6, 1
	v_fma_f32 v9, v7, v1, -v8
	v_fmac_f32_e32 v13, v5, v4
	v_fmac_f32_e32 v9, v5, v1
	v_cvt_f64_f32_e64 v[0:1], |v3|
	v_add_f32_e32 v10, v8, v9
	v_sub_f32_e32 v8, v10, v8
	v_add_f32_e32 v11, 0x3f2aaaaa, v10
	v_sub_f32_e32 v8, v9, v8
	v_add_f32_e32 v9, 0xbf2aaaaa, v11
	v_add_f32_e32 v8, 0x31739010, v8
	v_sub_f32_e32 v9, v10, v9
	v_frexp_exp_i32_f64_e32 v0, v[0:1]
	v_add_f32_e32 v7, v8, v9
	v_add_f32_e32 v8, v12, v13
	;; [unrolled: 1-line block ×3, first 2 shown]
	v_sub_f32_e32 v10, v8, v12
	v_sub_f32_e32 v1, v11, v5
	v_mul_f32_e32 v9, v8, v5
	v_sub_f32_e32 v10, v13, v10
	v_add_f32_e32 v1, v7, v1
	v_fma_f32 v7, v8, v5, -v9
	v_subrev_co_ci_u32_e64 v0, null, 0, v0, vcc_lo
	v_fmac_f32_e32 v7, v8, v1
	v_ldexp_f32 v1, v4, 1
	v_cvt_f32_i32_e32 v0, v0
	v_fmac_f32_e32 v7, v10, v5
	v_add_f32_e32 v4, v9, v7
	v_add_f32_e32 v5, v1, v4
	v_sub_f32_e32 v8, v4, v9
	v_mul_f32_e32 v9, 0x3f317218, v0
	v_sub_f32_e32 v1, v5, v1
	v_sub_f32_e32 v7, v7, v8
	v_fma_f32 v8, 0x3f317218, v0, -v9
	v_sub_f32_e32 v1, v4, v1
	v_add_f32_e32 v4, v6, v7
	v_fmamk_f32 v0, v0, 0xb102e308, v8
	v_add_f32_e32 v1, v4, v1
	v_add_f32_e32 v4, v9, v0
	;; [unrolled: 1-line block ×3, first 2 shown]
	v_sub_f32_e32 v9, v4, v9
	v_add_f32_e32 v7, v4, v6
	v_sub_f32_e32 v5, v6, v5
	v_sub_f32_e32 v0, v0, v9
	;; [unrolled: 1-line block ×6, first 2 shown]
	v_add_f32_e32 v6, v0, v1
	v_sub_f32_e32 v4, v4, v10
	v_add_f32_e32 v4, v5, v4
	v_sub_f32_e32 v5, v6, v0
	;; [unrolled: 2-line block ×3, first 2 shown]
	v_sub_f32_e32 v1, v1, v5
	v_add_f32_e32 v8, v7, v4
	v_sub_f32_e32 v0, v0, v6
	v_sub_f32_e32 v5, v8, v7
	v_add_f32_e32 v0, v1, v0
	v_sub_f32_e32 v1, v4, v5
	v_add_f32_e32 v0, v0, v1
	v_add_f32_e32 v1, v8, v0
	v_sub_f32_e32 v4, v1, v8
	v_mul_f32_e32 v5, v2, v1
	v_sub_f32_e32 v0, v0, v4
	v_fma_f32 v1, v2, v1, -v5
	v_cmp_class_f32_e64 vcc_lo, v5, 0x204
	v_fmac_f32_e32 v1, v2, v0
	v_add_f32_e32 v0, v5, v1
	v_cndmask_b32_e32 v4, v0, v5, vcc_lo
	v_sub_f32_e32 v0, v0, v5
	v_cmp_eq_f32_e32 vcc_lo, 0x42b17218, v4
	v_sub_f32_e32 v0, v1, v0
	v_cndmask_b32_e64 v6, 0, 0x37000000, vcc_lo
	v_cmp_neq_f32_e64 vcc_lo, 0x7f800000, |v4|
	v_sub_f32_e32 v7, v4, v6
	v_cndmask_b32_e32 v0, 0, v0, vcc_lo
	v_trunc_f32_e32 v4, v2
	v_mul_f32_e32 v8, 0x3fb8aa3b, v7
	v_cmp_ngt_f32_e32 vcc_lo, 0xc2ce8ed0, v7
	v_add_f32_e32 v0, v6, v0
	v_fma_f32 v9, 0x3fb8aa3b, v7, -v8
	v_rndne_f32_e32 v10, v8
	v_fmamk_f32 v9, v7, 0x32a5705f, v9
	v_sub_f32_e32 v8, v8, v10
	v_cvt_i32_f32_e32 v5, v10
	v_add_f32_e32 v8, v8, v9
	v_exp_f32_e32 v8, v8
	v_ldexp_f32 v1, v8, v5
	v_mul_f32_e32 v5, 0.5, v2
	v_cndmask_b32_e32 v1, 0, v1, vcc_lo
	v_cmp_nlt_f32_e32 vcc_lo, 0x42b17218, v7
	v_trunc_f32_e32 v8, v5
	v_cndmask_b32_e32 v1, 0x7f800000, v1, vcc_lo
	v_cmp_eq_f32_e32 vcc_lo, v4, v2
	v_cmp_neq_f32_e64 s0, v8, v5
	v_fma_f32 v0, v1, v0, v1
	v_cmp_class_f32_e64 s1, v1, 0x204
	s_and_b32 s0, vcc_lo, s0
	v_cndmask_b32_e64 v4, 1.0, v3, s0
	v_cndmask_b32_e64 v0, v0, v1, s1
	v_cmp_gt_f32_e64 s1, 0, v2
	v_bfi_b32 v0, 0x7fffffff, v0, v4
	s_xor_b32 s1, s1, s2
	v_cndmask_b32_e64 v4, 0, v3, s0
	v_cndmask_b32_e64 v1, 0x7f800000, 0, s1
	v_cmp_class_f32_e64 s0, v3, 0x204
	v_cndmask_b32_e32 v2, 0x7fc00000, v0, vcc_lo
	v_cmp_gt_f32_e32 vcc_lo, 0, v3
	v_bfi_b32 v1, 0x7fffffff, v1, v4
	v_cndmask_b32_e32 v0, v0, v2, vcc_lo
	s_or_b32 vcc_lo, s2, s0
	v_cndmask_b32_e32 v0, v0, v1, vcc_lo
	v_cmp_o_f32_e32 vcc_lo, v3, v3
	v_cndmask_b32_e32 v0, 0x7fc00000, v0, vcc_lo
	buffer_store_dword v0, off, s[96:99], 0 offset:604 ; 4-byte Folded Spill
.LBB27_2:
	s_load_dwordx16 s[60:75], s[4:5], 0x0
	v_cmp_eq_u32_e64 s0, 0, v32
	v_mbcnt_lo_u32_b32 v34, -1, 0
	s_mul_hi_u32 s10, s16, s9
	s_mul_hi_u32 s9, s15, s3
	s_and_saveexec_b32 s11, s0
	s_cbranch_execz .LBB27_11
; %bb.3:
	s_load_dwordx4 s[20:23], s[4:5], 0x70
	v_lshlrev_b32_e32 v13, 4, v33
	v_xor_b32_e32 v0, 4, v34
	v_xor_b32_e32 v6, 2, v34
	;; [unrolled: 1-line block ×3, first 2 shown]
	s_mov_b32 s18, exec_lo
	v_cmp_gt_i32_e32 vcc_lo, 32, v0
	v_cndmask_b32_e32 v0, v34, v0, vcc_lo
	v_cmp_gt_i32_e32 vcc_lo, 32, v6
	v_lshlrev_b32_e32 v0, 2, v0
	v_cndmask_b32_e32 v6, v34, v6, vcc_lo
	v_cmp_gt_i32_e32 vcc_lo, 32, v8
	s_waitcnt lgkmcnt(0)
	s_mul_i32 s1, s92, s22
	s_mul_i32 s2, s20, s6
	;; [unrolled: 1-line block ×3, first 2 shown]
	s_add_i32 s1, s1, s2
	v_lshlrev_b32_e32 v6, 2, v6
	s_add_i32 s1, s1, s3
	v_cndmask_b32_e32 v8, v34, v8, vcc_lo
	s_ashr_i32 s3, s1, 31
	s_add_u32 s2, s60, s1
	s_addc_u32 s3, s61, s3
	global_load_dwordx4 v[2:5], v13, s[2:3]
	s_waitcnt vmcnt(0)
	v_mul_f32_e32 v7, s8, v2
	v_mul_f32_e32 v9, s8, v3
	;; [unrolled: 1-line block ×4, first 2 shown]
	v_max_f32_e64 v1, |v7|, |v9|
	v_fma_f32 v2, s8, v2, v9
	v_max3_f32 v1, v1, |v11|, |v10|
	v_fmac_f32_e32 v2, s8, v4
	ds_bpermute_b32 v3, v0, v1
	v_fmac_f32_e32 v2, s8, v5
	ds_bpermute_b32 v5, v0, v2
	s_waitcnt lgkmcnt(1)
	v_max_f32_e32 v3, v3, v3
	v_max_f32_e32 v3, v1, v3
	s_waitcnt lgkmcnt(0)
	v_add_f32_e32 v2, v2, v5
	ds_bpermute_b32 v1, v6, v3
	s_waitcnt lgkmcnt(0)
	v_max_f32_e32 v12, v1, v1
	v_lshlrev_b32_e32 v1, 2, v8
	v_max_f32_e32 v3, v3, v12
	ds_bpermute_b32 v8, v1, v3
	s_waitcnt lgkmcnt(0)
	v_max_f32_e32 v4, v8, v8
	ds_bpermute_b32 v8, v6, v2
	v_max_f32_e32 v3, v3, v4
	v_div_scale_f32 v4, null, 0x42fe0000, 0x42fe0000, v3
	v_div_scale_f32 v14, vcc_lo, v3, 0x42fe0000, v3
	v_rcp_f32_e32 v12, v4
	v_fma_f32 v5, -v4, v12, 1.0
	v_fmac_f32_e32 v12, v5, v12
	s_waitcnt lgkmcnt(0)
	v_add_f32_e32 v5, v2, v8
	v_mul_f32_e32 v15, v14, v12
	ds_bpermute_b32 v8, v1, v5
	v_fma_f32 v16, -v4, v15, v14
	v_fmac_f32_e32 v15, v16, v12
	v_fma_f32 v2, -v4, v15, v14
	v_div_fmas_f32 v2, v2, v12, v15
	v_mov_b32_e32 v12, 0
	v_div_fixup_f32 v4, v2, 0x42fe0000, v3
	v_add_co_u32 v2, s1, s2, v13
	v_add_co_ci_u32_e64 v3, null, s3, 0, s1
	v_cmpx_neq_f32_e32 0, v4
	s_cbranch_execz .LBB27_5
; %bb.4:
	v_div_scale_f32 v12, null, v4, v4, v7
	v_div_scale_f32 v13, null, v4, v4, v9
	;; [unrolled: 1-line block ×3, first 2 shown]
	v_rcp_f32_e32 v14, v12
	v_div_scale_f32 v16, null, v4, v4, v10
	v_rcp_f32_e32 v17, v13
	v_rcp_f32_e32 v18, v15
	v_div_scale_f32 v22, vcc_lo, v7, v4, v7
	v_rcp_f32_e32 v19, v16
	v_fma_f32 v20, -v12, v14, 1.0
	v_fma_f32 v21, -v13, v17, 1.0
	v_fma_f32 v23, -v15, v18, 1.0
	v_fmac_f32_e32 v14, v20, v14
	v_div_scale_f32 v20, s1, v9, v4, v9
	v_fma_f32 v24, -v16, v19, 1.0
	v_fmac_f32_e32 v17, v21, v17
	v_fmac_f32_e32 v18, v23, v18
	v_div_scale_f32 v21, s2, v11, v4, v11
	v_fmac_f32_e32 v19, v24, v19
	v_mul_f32_e32 v24, v22, v14
	v_mul_f32_e32 v25, v20, v17
	;; [unrolled: 1-line block ×3, first 2 shown]
	v_div_scale_f32 v23, s3, v10, v4, v10
	v_fma_f32 v28, -v12, v24, v22
	v_fma_f32 v29, -v13, v25, v20
	;; [unrolled: 1-line block ×3, first 2 shown]
	v_mul_f32_e32 v27, v23, v19
	v_fmac_f32_e32 v24, v28, v14
	v_fmac_f32_e32 v25, v29, v17
	;; [unrolled: 1-line block ×3, first 2 shown]
	v_fma_f32 v31, -v16, v27, v23
	v_fma_f32 v12, -v12, v24, v22
	;; [unrolled: 1-line block ×4, first 2 shown]
	v_fmac_f32_e32 v27, v31, v19
	v_div_fmas_f32 v12, v12, v14, v24
	s_mov_b32 vcc_lo, s1
	v_div_fmas_f32 v13, v13, v17, v25
	s_mov_b32 vcc_lo, s2
	v_div_fixup_f32 v7, v12, v4, v7
	v_div_fmas_f32 v14, v15, v18, v26
	v_fma_f32 v15, -v16, v27, v23
	s_mov_b32 vcc_lo, s3
	v_div_fixup_f32 v9, v13, v4, v9
	v_div_fixup_f32 v11, v14, v4, v11
	v_div_fmas_f32 v14, v15, v19, v27
	v_trunc_f32_e32 v13, v9
	v_trunc_f32_e32 v15, v11
	v_div_fixup_f32 v10, v14, v4, v10
	v_trunc_f32_e32 v14, v7
	v_sub_f32_e32 v17, v9, v13
	v_sub_f32_e32 v12, v11, v15
	v_trunc_f32_e32 v16, v10
	v_sub_f32_e32 v19, v7, v14
	v_cmp_ge_f32_e64 s1, |v12|, 0.5
	v_sub_f32_e32 v18, v10, v16
	v_cndmask_b32_e64 v12, 0, 1.0, s1
	v_cmp_ge_f32_e64 s1, |v17|, 0.5
	v_bfi_b32 v11, 0x7fffffff, v12, v11
	v_cndmask_b32_e64 v12, 0, 1.0, s1
	v_cmp_ge_f32_e64 s1, |v18|, 0.5
	v_add_f32_e32 v11, v15, v11
	v_bfi_b32 v9, 0x7fffffff, v12, v9
	v_cndmask_b32_e64 v17, 0, 1.0, s1
	v_cmp_ge_f32_e64 s1, |v19|, 0.5
	v_mov_b32_e32 v12, 8
	v_cvt_i32_f32_e32 v11, v11
	v_add_f32_e32 v9, v13, v9
	v_bfi_b32 v10, 0x7fffffff, v17, v10
	v_cndmask_b32_e64 v15, 0, 1.0, s1
	v_and_b32_e32 v11, 0xff, v11
	v_cvt_i32_f32_e32 v9, v9
	v_add_f32_e32 v10, v16, v10
	v_bfi_b32 v7, 0x7fffffff, v15, v7
	v_lshlrev_b32_e32 v11, 16, v11
	v_lshlrev_b32_sdwa v9, v12, v9 dst_sel:DWORD dst_unused:UNUSED_PAD src0_sel:DWORD src1_sel:BYTE_0
	v_cvt_i32_f32_e32 v10, v10
	v_add_f32_e32 v7, v14, v7
	v_lshl_or_b32 v10, v10, 24, v11
	v_cvt_i32_f32_e32 v7, v7
	v_and_b32_e32 v7, 0xff, v7
	v_or3_b32 v12, v10, v9, v7
.LBB27_5:
	s_or_b32 exec_lo, exec_lo, s18
	v_and_b32_e32 v9, 7, v33
	v_lshlrev_b32_e32 v7, 2, v33
	v_cmp_eq_u32_e64 s1, 0, v9
	ds_write_b32 v7, v12
	s_and_saveexec_b32 s2, s1
	s_cbranch_execz .LBB27_7
; %bb.6:
	s_waitcnt lgkmcnt(1)
	v_add_f32_e32 v5, v5, v8
	ds_write_b64 v33, v[4:5] offset:256
.LBB27_7:
	s_or_b32 exec_lo, exec_lo, s2
	global_load_dwordx4 v[9:12], v[2:3], off offset:512
	s_mov_b32 s18, exec_lo
	s_waitcnt vmcnt(0)
	v_mul_f32_e32 v3, s8, v9
	v_mul_f32_e32 v4, s8, v10
	s_waitcnt lgkmcnt(1)
	v_mul_f32_e32 v8, s8, v11
	v_mul_f32_e32 v5, s8, v12
	v_max_f32_e64 v2, |v3|, |v4|
	v_fma_f32 v9, s8, v9, v4
	v_max3_f32 v2, v2, |v8|, |v5|
	v_fmac_f32_e32 v9, s8, v11
	ds_bpermute_b32 v10, v0, v2
	v_fmac_f32_e32 v9, s8, v12
	ds_bpermute_b32 v0, v0, v9
	s_waitcnt lgkmcnt(1)
	v_max_f32_e32 v10, v10, v10
	v_max_f32_e32 v2, v2, v10
	s_waitcnt lgkmcnt(0)
	v_add_f32_e32 v0, v9, v0
	ds_bpermute_b32 v10, v6, v2
	ds_bpermute_b32 v6, v6, v0
	s_waitcnt lgkmcnt(1)
	v_max_f32_e32 v10, v10, v10
	s_waitcnt lgkmcnt(0)
	v_add_f32_e32 v0, v0, v6
	v_max_f32_e32 v2, v2, v10
	ds_bpermute_b32 v10, v1, v2
	ds_bpermute_b32 v1, v1, v0
	s_waitcnt lgkmcnt(1)
	v_max_f32_e32 v10, v10, v10
	v_max_f32_e32 v2, v2, v10
	v_div_scale_f32 v10, null, 0x42fe0000, 0x42fe0000, v2
	v_div_scale_f32 v12, vcc_lo, v2, 0x42fe0000, v2
	v_rcp_f32_e32 v11, v10
	v_fma_f32 v9, -v10, v11, 1.0
	v_fmac_f32_e32 v11, v9, v11
	v_mul_f32_e32 v9, v12, v11
	v_fma_f32 v13, -v10, v9, v12
	v_fmac_f32_e32 v9, v13, v11
	v_fma_f32 v6, -v10, v9, v12
	v_div_fmas_f32 v6, v6, v11, v9
	v_div_fixup_f32 v2, v6, 0x42fe0000, v2
	v_mov_b32_e32 v6, 0
	v_cmpx_neq_f32_e32 0, v2
	s_cbranch_execz .LBB27_9
; %bb.8:
	v_div_scale_f32 v6, null, v2, v2, v3
	v_div_scale_f32 v9, null, v2, v2, v4
	;; [unrolled: 1-line block ×3, first 2 shown]
	v_rcp_f32_e32 v10, v6
	v_div_scale_f32 v12, null, v2, v2, v5
	v_rcp_f32_e32 v13, v9
	v_rcp_f32_e32 v14, v11
	v_div_scale_f32 v18, vcc_lo, v3, v2, v3
	v_rcp_f32_e32 v15, v12
	v_fma_f32 v16, -v6, v10, 1.0
	v_fma_f32 v17, -v9, v13, 1.0
	;; [unrolled: 1-line block ×3, first 2 shown]
	v_fmac_f32_e32 v10, v16, v10
	v_div_scale_f32 v16, s2, v4, v2, v4
	v_fma_f32 v20, -v12, v15, 1.0
	v_fmac_f32_e32 v13, v17, v13
	v_fmac_f32_e32 v14, v19, v14
	v_div_scale_f32 v17, s3, v8, v2, v8
	v_fmac_f32_e32 v15, v20, v15
	v_mul_f32_e32 v20, v18, v10
	v_mul_f32_e32 v21, v16, v13
	;; [unrolled: 1-line block ×3, first 2 shown]
	v_div_scale_f32 v19, s8, v5, v2, v5
	v_fma_f32 v24, -v6, v20, v18
	v_fma_f32 v25, -v9, v21, v16
	;; [unrolled: 1-line block ×3, first 2 shown]
	v_mul_f32_e32 v23, v19, v15
	v_fmac_f32_e32 v20, v24, v10
	v_fmac_f32_e32 v21, v25, v13
	;; [unrolled: 1-line block ×3, first 2 shown]
	v_fma_f32 v27, -v12, v23, v19
	v_fma_f32 v6, -v6, v20, v18
	;; [unrolled: 1-line block ×4, first 2 shown]
	v_fmac_f32_e32 v23, v27, v15
	v_div_fmas_f32 v6, v6, v10, v20
	s_mov_b32 vcc_lo, s2
	v_div_fmas_f32 v9, v9, v13, v21
	s_mov_b32 vcc_lo, s3
	v_div_fixup_f32 v3, v6, v2, v3
	v_div_fmas_f32 v10, v11, v14, v22
	v_fma_f32 v11, -v12, v23, v19
	s_mov_b32 vcc_lo, s8
	v_div_fixup_f32 v4, v9, v2, v4
	v_div_fixup_f32 v8, v10, v2, v8
	v_div_fmas_f32 v10, v11, v15, v23
	v_trunc_f32_e32 v9, v4
	v_trunc_f32_e32 v11, v8
	v_div_fixup_f32 v5, v10, v2, v5
	v_trunc_f32_e32 v10, v3
	v_sub_f32_e32 v13, v4, v9
	v_sub_f32_e32 v6, v8, v11
	v_trunc_f32_e32 v12, v5
	v_sub_f32_e32 v15, v3, v10
	v_cmp_ge_f32_e64 s2, |v6|, 0.5
	v_sub_f32_e32 v14, v5, v12
	v_cndmask_b32_e64 v6, 0, 1.0, s2
	v_cmp_ge_f32_e64 s2, |v13|, 0.5
	v_bfi_b32 v6, 0x7fffffff, v6, v8
	v_cndmask_b32_e64 v8, 0, 1.0, s2
	v_cmp_ge_f32_e64 s2, |v14|, 0.5
	v_add_f32_e32 v6, v11, v6
	v_bfi_b32 v4, 0x7fffffff, v8, v4
	v_cndmask_b32_e64 v13, 0, 1.0, s2
	v_cmp_ge_f32_e64 s2, |v15|, 0.5
	v_mov_b32_e32 v8, 8
	v_cvt_i32_f32_e32 v6, v6
	v_add_f32_e32 v4, v9, v4
	v_bfi_b32 v5, 0x7fffffff, v13, v5
	v_cndmask_b32_e64 v11, 0, 1.0, s2
	v_and_b32_e32 v6, 0xff, v6
	v_cvt_i32_f32_e32 v4, v4
	v_add_f32_e32 v5, v12, v5
	v_bfi_b32 v3, 0x7fffffff, v11, v3
	v_lshlrev_b32_e32 v6, 16, v6
	v_lshlrev_b32_sdwa v4, v8, v4 dst_sel:DWORD dst_unused:UNUSED_PAD src0_sel:DWORD src1_sel:BYTE_0
	v_cvt_i32_f32_e32 v5, v5
	v_add_f32_e32 v3, v10, v3
	v_lshl_or_b32 v5, v5, 24, v6
	v_cvt_i32_f32_e32 v3, v3
	v_and_b32_e32 v3, 0xff, v3
	v_or3_b32 v6, v5, v4, v3
.LBB27_9:
	s_or_b32 exec_lo, exec_lo, s18
	ds_write_b32 v7, v6 offset:128
	s_and_b32 exec_lo, exec_lo, s1
	s_cbranch_execz .LBB27_11
; %bb.10:
	s_waitcnt lgkmcnt(1)
	v_add_f32_e32 v3, v0, v1
	ds_write_b64 v33, v[2:3] offset:288
.LBB27_11:
	s_or_b32 exec_lo, exec_lo, s11
	v_and_b32_e32 v18, 1, v33
	s_waitcnt lgkmcnt(0)
	s_waitcnt_vscnt null, 0x0
	s_barrier
	buffer_gl0_inv
	v_mov_b32_e32 v21, 0
	v_lshlrev_b32_e32 v0, 2, v18
	s_ashr_i32 s83, s82, 31
	s_ashr_i32 s1, s17, 31
	s_ashr_i32 s11, s92, 31
	s_cmp_eq_u64 s[70:71], 0
	ds_read2_b32 v[1:2], v0 offset1:2
	s_waitcnt lgkmcnt(0)
	buffer_store_dword v1, off, s[96:99], 0 offset:12 ; 4-byte Folded Spill
	buffer_store_dword v2, off, s[96:99], 0 offset:16 ; 4-byte Folded Spill
	ds_read2_b32 v[1:2], v0 offset0:4 offset1:6
	s_waitcnt lgkmcnt(0)
	buffer_store_dword v1, off, s[96:99], 0 offset:20 ; 4-byte Folded Spill
	buffer_store_dword v2, off, s[96:99], 0 offset:24 ; 4-byte Folded Spill
	ds_read2_b32 v[1:2], v0 offset0:8 offset1:10
	;; [unrolled: 4-line block ×3, first 2 shown]
	s_waitcnt lgkmcnt(0)
	buffer_store_dword v1, off, s[96:99], 0 offset:36 ; 4-byte Folded Spill
	buffer_store_dword v2, off, s[96:99], 0 offset:40 ; 4-byte Folded Spill
	ds_read_b128 v[2:5], v21 offset:256
	ds_read_b128 v[6:9], v21 offset:272
	;; [unrolled: 1-line block ×4, first 2 shown]
	ds_read2_b32 v[19:20], v0 offset0:16 offset1:18
	s_waitcnt lgkmcnt(0)
	buffer_store_dword v19, off, s[96:99], 0 offset:44 ; 4-byte Folded Spill
	buffer_store_dword v20, off, s[96:99], 0 offset:48 ; 4-byte Folded Spill
	ds_read2_b32 v[19:20], v0 offset0:20 offset1:22
	s_waitcnt lgkmcnt(0)
	buffer_store_dword v19, off, s[96:99], 0 offset:52 ; 4-byte Folded Spill
	buffer_store_dword v20, off, s[96:99], 0 offset:56 ; 4-byte Folded Spill
	;; [unrolled: 4-line block ×12, first 2 shown]
	s_waitcnt_vscnt null, 0x0
	s_barrier
	buffer_gl0_inv
	s_cbranch_scc1 .LBB27_13
; %bb.12:
	s_load_dword s2, s[4:5], 0xd0
	s_mov_b32 s3, 0
	s_waitcnt lgkmcnt(0)
	s_mul_i32 s2, s2, s92
	s_add_i32 s2, s2, s6
	s_lshl_b64 s[2:3], s[2:3], 2
	s_add_u32 s2, s70, s2
	s_addc_u32 s3, s71, s3
	s_load_dword s84, s[2:3], 0x0
.LBB27_13:
	v_lshlrev_b32_e32 v1, 5, v32
	s_lshl_b32 s70, s7, 7
	s_mov_b32 s71, 0
	s_waitcnt lgkmcnt(0)
	s_cmp_ge_i32 s70, s84
	v_add_nc_u32_e32 v19, v1, v33
	v_lshlrev_b32_e32 v20, 1, v19
	buffer_store_dword v20, off, s[96:99], 0 offset:608 ; 4-byte Folded Spill
	v_lshlrev_b32_e32 v20, 2, v33
	s_cbranch_scc1 .LBB27_29
; %bb.14:
	buffer_store_dword v19, off, s[96:99], 0 offset:704 ; 4-byte Folded Spill
	buffer_store_dword v32, off, s[96:99], 0 offset:700 ; 4-byte Folded Spill
	s_clause 0x1
	s_load_dwordx4 s[76:79], s[4:5], 0x98
	s_load_dwordx2 s[90:91], s[4:5], 0x8c
	s_mul_i32 s18, s10, s14
	s_xor_b32 s17, s83, s1
	s_sub_i32 s16, s16, s18
	s_add_i32 s19, s10, 1
	s_sub_i32 s18, s16, s14
	s_mul_i32 s20, s9, s12
	s_clause 0x2
	s_load_dwordx2 s[2:3], s[4:5], 0xa8
	s_load_dwordx2 s[8:9], s[4:5], 0xc8
	s_load_dword s21, s[4:5], 0xd4
	s_mul_i32 s13, s13, s6
	v_and_b32_e32 v19, 0x7e, v33
	v_bfe_u32 v21, v33, 3, 27
	buffer_store_dword v20, off, s[96:99], 0 offset:708 ; 4-byte Folded Spill
	v_add_nc_u32_e32 v20, 0x80, v20
	v_cmp_eq_u32_e64 s1, 0, v18
	v_add_nc_u32_e32 v62, v1, v19
	v_mul_u32_u24_e32 v19, 18, v21
	buffer_store_dword v33, off, s[96:99], 0 offset:696 ; 4-byte Folded Spill
	v_lshrrev_b32_e32 v23, 5, v20
	v_and_b32_e32 v24, 12, v20
	s_waitcnt lgkmcnt(0)
	s_mul_hi_u32 s22, s76, s92
	s_mul_i32 s23, s76, s11
	s_mul_i32 s24, s77, s92
	s_add_i32 s85, s22, s23
	v_mul_hi_u32_u24_e32 v20, 18, v21
	s_add_i32 s85, s85, s24
	s_cmp_ge_u32 s16, s14
	v_lshlrev_b32_e32 v22, 1, v62
	s_cselect_b32 s10, s19, s10
	s_cselect_b32 s16, s18, s16
	s_add_i32 s18, s10, 1
	s_cmp_ge_u32 s16, s14
	v_mul_lo_u32 v25, v1, s78
	s_cselect_b32 s10, s18, s10
	s_sub_i32 s14, s15, s20
	s_xor_b32 s10, s10, s17
	s_sub_i32 s15, s14, s12
	s_sub_i32 s10, s10, s17
	v_mad_u64_u32 v[19:20], null, s2, s92, v[19:20]
	s_mul_i32 s86, s10, s91
	s_mul_i32 s91, s10, s79
	s_ashr_i32 s79, s86, 31
	s_ashr_i32 s93, s91, 31
	s_cmp_ge_u32 s14, s12
	s_mul_i32 s3, s3, s92
	s_cselect_b32 s10, s15, s14
	v_mul_u32_u24_e32 v21, 18, v23
	s_sub_i32 s14, s10, s12
	s_cmp_ge_u32 s10, s12
	v_ashrrev_i32_e32 v26, 31, v25
	s_cselect_b32 s10, s14, s10
	v_add_nc_u32_e32 v28, s78, v25
	s_xor_b32 s10, s10, s11
	v_mul_lo_u32 v62, v62, s90
	s_sub_i32 s10, s10, s11
	s_mov_b32 s89, s71
	s_ashr_i32 s12, s10, 31
	s_mul_hi_u32 s14, s8, s10
	s_mul_i32 s12, s8, s12
	s_mul_i32 s9, s9, s10
	s_add_i32 s12, s14, s12
	s_ashr_i32 s14, s13, 31
	s_add_i32 s12, s12, s9
	s_cmp_lg_u64 s[66:67], 0
	s_mul_i32 s10, s8, s10
	s_cselect_b32 s77, -1, 0
	s_lshl_b32 s88, s21, 7
	s_add_u32 s94, s62, s86
	s_addc_u32 s95, s63, s79
	s_lshl_b64 s[8:9], s[70:71], 1
	v_ashrrev_i32_e32 v33, 31, v28
	s_add_u32 s8, s10, s8
	s_addc_u32 s9, s12, s9
	s_add_u32 s10, s66, s13
	s_addc_u32 s12, s67, s14
	;; [unrolled: 2-line block ×3, first 2 shown]
	v_add_co_u32 v27, s8, s8, v22
	v_add_co_ci_u32_e64 v29, null, s9, 0, s8
	s_mul_i32 s8, s2, s11
	v_mul_hi_u32_u24_e32 v22, 18, v23
	s_add_i32 s8, s8, s3
	v_add_co_u32 v58, vcc_lo, v27, 2
	v_add_nc_u32_e32 v23, s8, v20
	v_mad_u64_u32 v[20:21], null, s2, s92, v[21:22]
	v_add_co_ci_u32_e64 v59, null, 0, v29, vcc_lo
	v_add_co_u32 v168, vcc_lo, v19, v25
	v_add_co_ci_u32_e64 v169, null, v23, v26, vcc_lo
	v_add_co_u32 v22, vcc_lo, v19, v24
	v_add_co_ci_u32_e64 v27, null, 0, v23, vcc_lo
	v_add_nc_u32_e32 v21, s8, v21
	v_add_co_u32 v171, vcc_lo, v22, v25
	v_add_co_ci_u32_e64 v172, null, v27, v26, vcc_lo
	v_add_co_u32 v24, vcc_lo, v20, v24
	v_add_co_ci_u32_e64 v29, null, 0, v21, vcc_lo
	;; [unrolled: 2-line block ×6, first 2 shown]
	v_add_co_u32 v18, vcc_lo, v64, v28
	v_add_nc_u32_e32 v32, s78, v28
	v_add_nc_u32_e32 v19, 31, v1
	buffer_store_dword v18, off, s[96:99], 0 offset:4 ; 4-byte Folded Spill
	v_add_co_ci_u32_e64 v18, null, v44, v33, vcc_lo
	v_add_co_u32 v185, vcc_lo, v71, v28
	v_add_co_ci_u32_e64 v186, null, v55, v33, vcc_lo
	v_add_co_u32 v74, vcc_lo, v20, s91
	;; [unrolled: 2-line block ×4, first 2 shown]
	buffer_store_dword v18, off, s[96:99], 0 offset:8 ; 4-byte Folded Spill
	v_add_co_ci_u32_e64 v188, null, v60, v33, vcc_lo
	v_add_co_u32 v18, vcc_lo, v75, v28
	v_ashrrev_i32_e32 v36, 31, v32
	v_mul_lo_u32 v19, s78, v19
	v_add_nc_u32_e32 v21, 30, v1
	buffer_store_dword v18, off, s[96:99], 0 offset:140 ; 4-byte Folded Spill
	v_add_co_ci_u32_e64 v18, null, v63, v33, vcc_lo
	v_add_nc_u32_e32 v37, s78, v32
	v_mul_lo_u32 v21, s78, v21
	buffer_store_dword v18, off, s[96:99], 0 offset:148 ; 4-byte Folded Spill
	v_add_co_u32 v18, vcc_lo, v64, v32
	v_ashrrev_i32_e32 v20, 31, v19
	v_add_nc_u32_e32 v95, s78, v37
	v_ashrrev_i32_e32 v226, 31, v37
	buffer_store_dword v18, off, s[96:99], 0 offset:152 ; 4-byte Folded Spill
	v_add_co_ci_u32_e64 v18, null, v44, v36, vcc_lo
	v_ashrrev_i32_e32 v22, 31, v21
	v_add_nc_u32_e32 v87, s78, v95
	v_ashrrev_i32_e32 v224, 31, v95
	buffer_store_dword v18, off, s[96:99], 0 offset:156 ; 4-byte Folded Spill
	v_add_co_u32 v18, vcc_lo, v71, v32
	v_add_nc_u32_e32 v79, s78, v87
	v_ashrrev_i32_e32 v193, 31, v87
	v_add_co_u32 v164, s47, v74, v87
	buffer_store_dword v18, off, s[96:99], 0 offset:176 ; 4-byte Folded Spill
	v_add_co_ci_u32_e64 v18, null, v55, v36, vcc_lo
	v_add_nc_u32_e32 v72, s78, v79
	v_ashrrev_i32_e32 v192, 31, v79
	v_add_co_u32 v108, s43, v74, v79
	buffer_store_dword v18, off, s[96:99], 0 offset:180 ; 4-byte Folded Spill
	v_add_co_u32 v18, vcc_lo, v74, v32
	v_add_nc_u32_e32 v52, s78, v72
	v_ashrrev_i32_e32 v189, 31, v72
	v_add_co_u32 v104, s39, v74, v72
	buffer_store_dword v18, off, s[96:99], 0 offset:160 ; 4-byte Folded Spill
	v_add_co_ci_u32_e64 v18, null, v60, v36, vcc_lo
	v_add_nc_u32_e32 v45, s78, v52
	v_ashrrev_i32_e32 v181, 31, v52
	v_add_co_u32 v102, s35, v74, v52
	buffer_store_dword v18, off, s[96:99], 0 offset:164 ; 4-byte Folded Spill
	v_add_co_u32 v18, vcc_lo, v75, v32
	v_ashrrev_i32_e32 v180, 31, v45
	v_add_co_u32 v98, s30, v74, v45
	buffer_store_dword v18, off, s[96:99], 0 offset:168 ; 4-byte Folded Spill
	v_add_co_ci_u32_e64 v18, null, v63, v36, vcc_lo
	v_add_nc_u32_e32 v36, s78, v45
	v_add_co_u32 v100, s31, v71, v45
	buffer_store_dword v18, off, s[96:99], 0 offset:172 ; 4-byte Folded Spill
	v_add_co_u32 v18, vcc_lo, v75, v19
	v_add_nc_u32_e32 v25, s78, v36
	v_ashrrev_i32_e32 v179, 31, v36
	v_add_co_u32 v76, s26, v74, v36
	buffer_store_dword v18, off, s[96:99], 0 offset:216 ; 4-byte Folded Spill
	v_add_co_ci_u32_e64 v18, null, v63, v20, vcc_lo
	v_ashrrev_i32_e32 v178, 31, v25
	v_add_co_u32 v56, s22, v74, v25
	buffer_store_dword v18, off, s[96:99], 0 offset:220 ; 4-byte Folded Spill
	v_add_co_u32 v18, vcc_lo, v74, v19
	v_add_co_u32 v91, s23, v71, v25
	v_add_co_u32 v90, s24, v64, v25
	buffer_store_dword v18, off, s[96:99], 0 offset:192 ; 4-byte Folded Spill
	v_add_co_ci_u32_e64 v18, null, v60, v20, vcc_lo
	v_add_co_u32 v97, s27, v71, v36
	v_add_co_u32 v94, s28, v64, v36
	buffer_store_dword v18, off, s[96:99], 0 offset:196 ; 4-byte Folded Spill
	v_add_co_u32 v18, vcc_lo, v71, v19
	v_add_co_u32 v99, s33, v64, v45
	v_add_co_u32 v101, s36, v71, v52
	buffer_store_dword v18, off, s[96:99], 0 offset:208 ; 4-byte Folded Spill
	v_add_co_ci_u32_e64 v18, null, v55, v20, vcc_lo
	v_add_co_u32 v103, s37, v64, v52
	v_add_co_u32 v111, s40, v71, v72
	buffer_store_dword v18, off, s[96:99], 0 offset:212 ; 4-byte Folded Spill
	v_add_co_u32 v18, vcc_lo, v64, v19
	v_add_nc_u32_e32 v19, 29, v1
	v_add_co_u32 v110, s41, v64, v72
	buffer_store_dword v18, off, s[96:99], 0 offset:184 ; 4-byte Folded Spill
	v_add_co_ci_u32_e64 v18, null, v44, v20, vcc_lo
	v_mul_lo_u32 v19, s78, v19
	v_add_nc_u32_e32 v20, 28, v1
	v_add_co_u32 v106, s44, v71, v79
	buffer_store_dword v18, off, s[96:99], 0 offset:188 ; 4-byte Folded Spill
	v_add_co_u32 v18, vcc_lo, v75, v21
	v_mul_lo_u32 v20, s78, v20
	v_add_co_u32 v107, s45, v64, v79
	buffer_store_dword v18, off, s[96:99], 0 offset:200 ; 4-byte Folded Spill
	v_add_co_ci_u32_e64 v18, null, v63, v22, vcc_lo
	v_add_co_u32 v162, s48, v71, v87
	v_add_co_u32 v105, s49, v64, v87
	buffer_store_dword v18, off, s[96:99], 0 offset:204 ; 4-byte Folded Spill
	v_add_co_u32 v18, vcc_lo, v74, v21
	v_add_co_u32 v118, s51, v74, v95
	v_add_co_u32 v153, s52, v71, v95
	buffer_store_dword v18, off, s[96:99], 0 offset:224 ; 4-byte Folded Spill
	v_add_co_ci_u32_e64 v18, null, v60, v22, vcc_lo
	v_add_co_u32 v154, s53, v64, v95
	v_add_co_u32 v139, s55, v74, v37
	buffer_store_dword v18, off, s[96:99], 0 offset:228 ; 4-byte Folded Spill
	v_add_co_u32 v18, vcc_lo, v71, v21
	v_add_co_u32 v144, s57, v71, v37
	v_add_co_u32 v115, s59, v64, v37
	buffer_store_dword v18, off, s[96:99], 0 offset:232 ; 4-byte Folded Spill
	v_add_co_ci_u32_e64 v18, null, v55, v22, vcc_lo
	v_add_co_ci_u32_e64 v152, null, v44, v178, s24
	v_add_co_ci_u32_e64 v155, null, v44, v179, s28
	buffer_store_dword v18, off, s[96:99], 0 offset:236 ; 4-byte Folded Spill
	v_add_co_u32 v18, vcc_lo, v64, v21
	v_ashrrev_i32_e32 v21, 31, v19
	v_add_co_ci_u32_e64 v142, null, v44, v180, s33
	buffer_store_dword v18, off, s[96:99], 0 offset:240 ; 4-byte Folded Spill
	v_add_co_ci_u32_e64 v18, null, v44, v22, vcc_lo
	v_add_nc_u32_e32 v22, 27, v1
	v_add_co_ci_u32_e64 v138, null, v44, v181, s37
	buffer_store_dword v18, off, s[96:99], 0 offset:244 ; 4-byte Folded Spill
	v_add_co_u32 v18, vcc_lo, v75, v19
	v_add_co_ci_u32_e64 v126, null, v44, v189, s41
	v_add_co_ci_u32_e64 v134, null, v44, v192, s45
	buffer_store_dword v18, off, s[96:99], 0 offset:256 ; 4-byte Folded Spill
	v_add_co_ci_u32_e64 v18, null, v63, v21, vcc_lo
	v_add_co_ci_u32_e64 v157, null, v44, v193, s49
	v_add_co_ci_u32_e64 v145, null, v44, v224, s53
	buffer_store_dword v18, off, s[96:99], 0 offset:260 ; 4-byte Folded Spill
	v_add_co_u32 v18, vcc_lo, v74, v19
	v_add_co_ci_u32_e64 v112, null, v44, v226, s59
	v_add_co_ci_u32_e64 v156, null, v55, v178, s23
	buffer_store_dword v18, off, s[96:99], 0 offset:248 ; 4-byte Folded Spill
	v_add_co_ci_u32_e64 v18, null, v60, v21, vcc_lo
	v_add_co_ci_u32_e64 v159, null, v55, v179, s27
	;; [unrolled: 8-line block ×3, first 2 shown]
	v_add_co_ci_u32_e64 v161, null, v55, v193, s48
	buffer_store_dword v18, off, s[96:99], 0 offset:284 ; 4-byte Folded Spill
	v_add_co_u32 v18, vcc_lo, v64, v19
	v_ashrrev_i32_e32 v19, 31, v20
	v_add_co_ci_u32_e64 v158, null, v55, v224, s52
	buffer_store_dword v18, off, s[96:99], 0 offset:264 ; 4-byte Folded Spill
	v_add_co_ci_u32_e64 v18, null, v44, v21, vcc_lo
	v_mul_lo_u32 v21, s78, v22
	v_add_nc_u32_e32 v22, 26, v1
	v_add_co_ci_u32_e64 v116, null, v55, v226, s57
	buffer_store_dword v18, off, s[96:99], 0 offset:268 ; 4-byte Folded Spill
	v_add_co_u32 v18, vcc_lo, v75, v20
	v_add_co_u32 v89, s21, v75, v25
	v_add_co_u32 v93, s25, v75, v36
	buffer_store_dword v18, off, s[96:99], 0 offset:296 ; 4-byte Folded Spill
	v_add_co_ci_u32_e64 v18, null, v63, v19, vcc_lo
	v_add_co_u32 v80, s29, v75, v45
	v_add_co_u32 v88, s34, v75, v52
	buffer_store_dword v18, off, s[96:99], 0 offset:300 ; 4-byte Folded Spill
	v_add_co_u32 v18, vcc_lo, v74, v20
	v_add_co_u32 v96, s38, v75, v72
	v_add_co_u32 v109, s42, v75, v79
	buffer_store_dword v18, off, s[96:99], 0 offset:272 ; 4-byte Folded Spill
	v_add_co_ci_u32_e64 v18, null, v60, v19, vcc_lo
	v_add_co_u32 v167, s46, v75, v87
	v_add_co_u32 v120, s50, v75, v95
	buffer_store_dword v18, off, s[96:99], 0 offset:276 ; 4-byte Folded Spill
	v_add_co_u32 v18, vcc_lo, v71, v20
	v_add_co_u32 v135, s60, v75, v37
	v_add_co_ci_u32_e64 v146, null, v60, v178, s22
	buffer_store_dword v18, off, s[96:99], 0 offset:288 ; 4-byte Folded Spill
	v_add_co_ci_u32_e64 v18, null, v55, v19, vcc_lo
	v_add_co_ci_u32_e64 v150, null, v60, v179, s26
	v_add_co_ci_u32_e64 v141, null, v60, v180, s30
	buffer_store_dword v18, off, s[96:99], 0 offset:292 ; 4-byte Folded Spill
	v_add_co_u32 v18, vcc_lo, v64, v20
	v_mul_lo_u32 v20, s78, v22
	v_add_nc_u32_e32 v22, 25, v1
	v_add_co_ci_u32_e64 v137, null, v60, v181, s35
	buffer_store_dword v18, off, s[96:99], 0 offset:304 ; 4-byte Folded Spill
	v_add_co_ci_u32_e64 v18, null, v44, v19, vcc_lo
	v_ashrrev_i32_e32 v19, 31, v21
	v_add_co_u32 v222, vcc_lo, v75, v21
	buffer_store_dword v18, off, s[96:99], 0 offset:308 ; 4-byte Folded Spill
	v_add_co_ci_u32_e64 v70, null, v60, v189, s39
	v_add_co_ci_u32_e64 v18, null, v63, v19, vcc_lo
	v_add_co_ci_u32_e64 v130, null, v60, v192, s43
	v_add_co_ci_u32_e64 v163, null, v60, v193, s47
	buffer_store_dword v18, off, s[96:99], 0 offset:328 ; 4-byte Folded Spill
	v_add_co_u32 v18, vcc_lo, v74, v21
	v_add_co_ci_u32_e64 v166, null, v60, v224, s51
	v_add_co_ci_u32_e64 v148, null, v60, v226, s55
	buffer_store_dword v18, off, s[96:99], 0 offset:312 ; 4-byte Folded Spill
	v_add_co_ci_u32_e64 v18, null, v60, v19, vcc_lo
	v_add_co_ci_u32_e64 v160, null, v63, v179, s25
	v_add_co_ci_u32_e64 v151, null, v63, v180, s29
	buffer_store_dword v18, off, s[96:99], 0 offset:316 ; 4-byte Folded Spill
	v_add_co_u32 v18, vcc_lo, v71, v21
	v_add_co_ci_u32_e64 v140, null, v63, v181, s34
	v_add_co_ci_u32_e64 v57, null, v63, v189, s38
	buffer_store_dword v18, off, s[96:99], 0 offset:320 ; 4-byte Folded Spill
	v_add_co_ci_u32_e64 v18, null, v55, v19, vcc_lo
	v_add_co_ci_u32_e64 v123, null, v63, v192, s42
	v_add_co_ci_u32_e64 v131, null, v63, v193, s46
	buffer_store_dword v18, off, s[96:99], 0 offset:324 ; 4-byte Folded Spill
	v_add_co_u32 v18, vcc_lo, v64, v21
	v_mul_lo_u32 v21, s78, v22
	v_add_nc_u32_e32 v22, 24, v1
	v_add_co_ci_u32_e64 v149, null, v63, v224, s50
	buffer_store_dword v18, off, s[96:99], 0 offset:332 ; 4-byte Folded Spill
	v_add_co_ci_u32_e64 v18, null, v44, v19, vcc_lo
	v_ashrrev_i32_e32 v19, 31, v20
	v_add_co_u32 v203, vcc_lo, v75, v20
	buffer_store_dword v18, off, s[96:99], 0 offset:336 ; 4-byte Folded Spill
	v_add_co_ci_u32_e64 v143, null, v63, v226, s60
	v_add_co_ci_u32_e64 v196, null, v63, v19, vcc_lo
	v_add_co_u32 v18, vcc_lo, v74, v20
	v_add_co_ci_u32_e64 v199, null, v60, v19, vcc_lo
	v_add_co_u32 v198, vcc_lo, v71, v20
	v_add_co_ci_u32_e64 v204, null, v55, v19, vcc_lo
	v_add_co_u32 v195, vcc_lo, v64, v20
	v_add_co_ci_u32_e64 v205, null, v44, v19, vcc_lo
	v_ashrrev_i32_e32 v19, 31, v21
	v_mul_lo_u32 v20, s78, v22
	v_add_co_u32 v211, vcc_lo, v75, v21
	v_add_nc_u32_e32 v22, 23, v1
	v_add_co_ci_u32_e64 v210, null, v63, v19, vcc_lo
	v_add_co_u32 v207, vcc_lo, v74, v21
	v_add_co_ci_u32_e64 v206, null, v60, v19, vcc_lo
	v_add_co_u32 v212, vcc_lo, v71, v21
	v_add_co_ci_u32_e64 v208, null, v55, v19, vcc_lo
	v_add_co_u32 v194, vcc_lo, v64, v21
	v_add_co_ci_u32_e64 v213, null, v44, v19, vcc_lo
	v_ashrrev_i32_e32 v19, 31, v20
	v_mul_lo_u32 v21, s78, v22
	v_add_co_u32 v218, vcc_lo, v75, v20
	v_add_nc_u32_e32 v22, 22, v1
	;; [unrolled: 11-line block ×4, first 2 shown]
	v_add_co_ci_u32_e64 v243, null, v63, v19, vcc_lo
	v_add_co_u32 v238, vcc_lo, v74, v20
	v_add_co_ci_u32_e64 v209, null, v60, v19, vcc_lo
	v_add_co_u32 v240, vcc_lo, v71, v20
	;; [unrolled: 2-line block ×3, first 2 shown]
	v_ashrrev_i32_e32 v20, 31, v21
	v_add_co_ci_u32_e64 v247, null, v44, v19, vcc_lo
	v_add_co_u32 v245, vcc_lo, v74, v21
	v_add_co_u32 v249, s2, v71, v21
	v_add_co_u32 v244, s3, v64, v21
	v_add_co_u32 v252, s8, v75, v21
	v_mul_lo_u32 v19, s78, v22
	v_add_co_ci_u32_e64 v253, null, v63, v20, s8
	v_add_co_ci_u32_e64 v250, null, v60, v20, vcc_lo
	v_add_co_ci_u32_e64 v251, null, v55, v20, s2
	v_add_co_ci_u32_e64 v246, null, v44, v20, s3
	v_add_nc_u32_e32 v20, 19, v1
	v_ashrrev_i32_e32 v21, 31, v19
	v_add_co_u32 v233, vcc_lo, v74, v19
	v_add_co_u32 v228, s2, v71, v19
	v_mul_lo_u32 v20, s78, v20
	v_add_co_u32 v254, s3, v64, v19
	v_add_co_u32 v221, s8, v75, v19
	v_add_co_ci_u32_e64 v217, null, v63, v21, s8
	v_add_co_ci_u32_e64 v223, null, v60, v21, vcc_lo
	v_add_co_ci_u32_e64 v92, null, v55, v21, s2
	v_add_co_ci_u32_e64 v255, null, v44, v21, s3
	v_ashrrev_i32_e32 v19, 31, v20
	v_add_nc_u32_e32 v21, s78, v25
	v_add_co_u32 v236, vcc_lo, v74, v20
	v_add_co_u32 v235, s2, v71, v20
	v_add_co_u32 v239, s3, v64, v20
	;; [unrolled: 1-line block ×3, first 2 shown]
	v_add_co_ci_u32_e64 v66, null, v63, v19, s8
	v_add_co_ci_u32_e64 v69, null, v60, v19, vcc_lo
	v_add_co_ci_u32_e64 v68, null, v55, v19, s2
	v_add_co_ci_u32_e64 v231, null, v44, v19, s3
	v_add_nc_u32_e32 v19, s78, v21
	v_ashrrev_i32_e32 v177, 31, v21
	v_add_co_u32 v83, s18, v74, v21
	v_add_co_u32 v86, s19, v71, v21
	v_add_nc_u32_e32 v20, s78, v19
	v_ashrrev_i32_e32 v176, 31, v19
	v_add_co_u32 v42, s14, v74, v19
	v_add_co_u32 v41, s15, v71, v19
	;; [unrolled: 4-line block ×3, first 2 shown]
	v_add_co_u32 v33, s11, v71, v20
	v_add_co_u32 v81, s12, v64, v20
	s_clause 0x1
	buffer_load_dword v20, off, s[96:99], 0 offset:4
	buffer_load_dword v36, off, s[96:99], 0 offset:192
	v_add_nc_u32_e32 v170, s78, v22
	v_ashrrev_i32_e32 v174, 31, v22
	v_add_co_u32 v82, s16, v64, v19
	v_add_co_u32 v85, s20, v64, v21
	v_add_nc_u32_e32 v23, s78, v170
	v_ashrrev_i32_e32 v225, 31, v170
	v_add_co_u32 v121, s54, v74, v170
	v_add_co_ci_u32_e64 v119, null, v44, v175, s12
	v_add_nc_u32_e32 v24, s78, v23
	v_add_co_ci_u32_e64 v136, null, v44, v176, s16
	v_add_co_ci_u32_e64 v26, null, v44, v177, s20
	v_ashrrev_i32_e32 v28, 31, v24
	v_add_co_u32 v65, vcc_lo, v74, v24
	v_add_co_u32 v61, s2, v71, v24
	v_add_co_u32 v35, s3, v64, v24
	;; [unrolled: 1-line block ×3, first 2 shown]
	v_ashrrev_i32_e32 v24, 31, v23
	v_add_co_ci_u32_e64 v30, null, v63, v28, s8
	v_add_co_ci_u32_e64 v40, null, v55, v28, s2
	;; [unrolled: 1-line block ×3, first 2 shown]
	v_add_co_u32 v47, s2, v71, v23
	v_add_co_u32 v46, s3, v64, v23
	;; [unrolled: 1-line block ×3, first 2 shown]
	v_add_co_ci_u32_e64 v39, null, v60, v28, vcc_lo
	v_add_co_u32 v31, vcc_lo, v74, v23
	v_add_co_ci_u32_e64 v53, null, v63, v24, s8
	v_add_co_ci_u32_e64 v51, null, v55, v24, s2
	;; [unrolled: 1-line block ×3, first 2 shown]
	v_add_co_u32 v28, s2, v74, v22
	v_add_co_u32 v73, s3, v71, v22
	;; [unrolled: 1-line block ×5, first 2 shown]
	v_add_co_ci_u32_e64 v165, null, v44, v225, s58
	v_add_co_ci_u32_e64 v128, null, v44, v174, s8
	v_and_b32_e32 v44, 30, v34
	v_add_co_u32 v38, s13, v75, v19
	v_add_co_ci_u32_e64 v229, null, v55, v225, s56
	v_add_co_ci_u32_e64 v125, null, v55, v174, s3
	;; [unrolled: 1-line block ×5, first 2 shown]
	v_add_nc_u32_e32 v44, 2, v44
	v_xor_b32_e32 v55, 1, v34
	v_add_co_ci_u32_e64 v50, null, v60, v24, vcc_lo
	v_add_co_u32 v27, vcc_lo, v75, v22
	v_add_co_ci_u32_e64 v232, null, v63, v174, vcc_lo
	v_cmp_lt_i32_e32 vcc_lo, v55, v44
	v_add_co_u32 v84, s17, v75, v21
	v_add_co_u32 v37, s61, v75, v170
	v_cndmask_b32_e32 v44, v34, v55, vcc_lo
	v_xor_b32_e32 v55, 4, v34
	v_add_co_ci_u32_e64 v75, null, v60, v225, s54
	v_add_co_ci_u32_e64 v124, null, v60, v174, s2
	v_lshlrev_b32_e32 v44, 2, v44
	v_add_co_ci_u32_e64 v132, null, v60, v175, s10
	v_add_co_ci_u32_e64 v113, null, v60, v176, s14
	buffer_store_dword v44, off, s[96:99], 0 offset:144 ; 4-byte Folded Spill
	v_xor_b32_e32 v44, 2, v34
	v_add_co_ci_u32_e64 v24, null, v60, v177, s18
	v_xor_b32_e32 v60, 8, v34
	buffer_store_dword v18, off, s[96:99], 0 offset:340 ; 4-byte Folded Spill
	v_cmp_gt_i32_e32 vcc_lo, 32, v44
	v_add_co_ci_u32_e64 v64, null, v63, v225, s61
	v_add_co_ci_u32_e64 v129, null, v63, v175, s9
	v_cndmask_b32_e32 v44, v34, v44, vcc_lo
	v_cmp_gt_i32_e32 vcc_lo, 32, v55
	v_add_co_ci_u32_e64 v117, null, v63, v176, s13
	v_add_co_ci_u32_e64 v18, null, v63, v177, s17
	;; [unrolled: 1-line block ×3, first 2 shown]
	v_cndmask_b32_e32 v55, v34, v55, vcc_lo
	v_cmp_gt_i32_e32 vcc_lo, 32, v60
	v_xor_b32_e32 v63, 16, v34
	v_lshlrev_b32_e32 v1, 1, v1
	s_mul_i32 s12, s76, s92
	s_mul_i32 s8, s78, s70
	v_cndmask_b32_e32 v60, v34, v60, vcc_lo
	v_cmp_gt_i32_e32 vcc_lo, 32, v63
	buffer_store_dword v1, off, s[96:99], 0 offset:628 ; 4-byte Folded Spill
	v_add_nc_u32_e32 v1, s90, v62
	v_add_co_u32 v0, s2, s12, v0
	v_cndmask_b32_e32 v63, v34, v63, vcc_lo
	v_lshlrev_b32_e32 v34, 2, v44
	v_ashrrev_i32_e32 v44, 31, v1
	s_mul_i32 s9, s90, s70
	s_mul_i32 s10, s88, s90
	;; [unrolled: 1-line block ×3, first 2 shown]
	buffer_store_dword v34, off, s[96:99], 0 offset:612 ; 4-byte Folded Spill
	v_lshlrev_b32_e32 v34, 2, v55
	v_add_co_ci_u32_e64 v55, null, s85, 0, s2
	s_lshl_b64 s[2:3], s[88:89], 1
	s_add_u32 s13, s64, s91
	buffer_store_dword v34, off, s[96:99], 0 offset:616 ; 4-byte Folded Spill
	v_lshlrev_b32_e32 v34, 2, v60
	v_add_co_u32 v60, vcc_lo, v0, v1
	s_addc_u32 s14, s65, s93
	buffer_store_dword v34, off, s[96:99], 0 offset:620 ; 4-byte Folded Spill
	v_lshlrev_b32_e32 v34, 2, v63
	v_add_co_ci_u32_e64 v63, null, v55, v44, vcc_lo
	buffer_store_dword v34, off, s[96:99], 0 offset:624 ; 4-byte Folded Spill
	v_add_co_u32 v34, vcc_lo, s94, v60
	v_add_co_ci_u32_e64 v60, null, s95, v63, vcc_lo
	buffer_store_dword v60, off, s[96:99], 0 ; 4-byte Folded Spill
	v_add_co_u32 v60, vcc_lo, s13, v171
	v_add_co_ci_u32_e64 v63, null, s14, v172, vcc_lo
	v_add_co_u32 v168, vcc_lo, s13, v168
	v_add_co_ci_u32_e64 v169, null, s14, v169, vcc_lo
	;; [unrolled: 2-line block ×6, first 2 shown]
	s_add_u32 s13, s94, s12
	s_addc_u32 s14, s95, s85
	s_add_u32 s12, s12, s86
	s_waitcnt vmcnt(1)
	v_add_co_u32 v60, vcc_lo, s64, v20
	buffer_load_dword v20, off, s[96:99], 0 offset:8 ; 4-byte Folded Reload
	buffer_store_dword v60, off, s[96:99], 0 offset:384 ; 4-byte Folded Spill
	s_waitcnt vmcnt(0)
	v_add_co_ci_u32_e64 v176, null, s65, v20, vcc_lo
	v_add_co_u32 v1, vcc_lo, s13, v1
	buffer_load_dword v20, off, s[96:99], 0 offset:152 ; 4-byte Folded Reload
	s_addc_u32 s13, s85, s79
	s_add_u32 s12, s62, s12
	buffer_store_dword v1, off, s[96:99], 0 offset:4 ; 4-byte Folded Spill
	v_add_co_ci_u32_e64 v1, null, s14, v44, vcc_lo
	v_add_co_u32 v0, vcc_lo, v0, s86
	v_ashrrev_i32_e32 v44, 31, v62
	buffer_store_dword v1, off, s[96:99], 0 offset:8 ; 4-byte Folded Spill
	v_add_co_ci_u32_e64 v1, null, s79, v55, vcc_lo
	v_add_co_u32 v0, vcc_lo, v0, v62
	s_addc_u32 s13, s63, s13
	v_add_co_ci_u32_e64 v1, null, v1, v44, vcc_lo
	v_add_co_u32 v55, vcc_lo, s64, v185
	v_add_co_ci_u32_e64 v60, null, s65, v186, vcc_lo
	v_add_co_u32 v22, vcc_lo, s62, v0
	buffer_load_dword v0, off, s[96:99], 0 offset:140 ; 4-byte Folded Reload
	v_add_co_ci_u32_e64 v23, null, s63, v1, vcc_lo
	buffer_load_dword v1, off, s[96:99], 0 offset:148 ; 4-byte Folded Reload
	v_add_co_u32 v177, vcc_lo, v55, 2
	v_add_co_ci_u32_e64 v178, null, 0, v60, vcc_lo
	s_waitcnt vmcnt(1)
	v_add_co_u32 v0, vcc_lo, s64, v0
	s_waitcnt vmcnt(0)
	v_add_co_ci_u32_e64 v1, null, s65, v1, vcc_lo
	v_add_co_u32 v179, vcc_lo, s64, v187
	v_add_co_ci_u32_e64 v180, null, s65, v188, vcc_lo
	v_add_co_u32 v181, vcc_lo, v0, 2
	buffer_load_dword v0, off, s[96:99], 0 offset:176 ; 4-byte Folded Reload
	v_add_co_ci_u32_e64 v182, null, 0, v1, vcc_lo
	buffer_load_dword v1, off, s[96:99], 0 offset:180 ; 4-byte Folded Reload
	s_waitcnt vmcnt(1)
	v_add_co_u32 v0, vcc_lo, s64, v0
	s_waitcnt vmcnt(0)
	v_add_co_ci_u32_e64 v1, null, s65, v1, vcc_lo
	v_add_co_u32 v55, vcc_lo, s64, v20
	buffer_load_dword v20, off, s[96:99], 0 offset:156 ; 4-byte Folded Reload
	buffer_store_dword v55, off, s[96:99], 0 offset:396 ; 4-byte Folded Spill
	s_waitcnt vmcnt(0)
	v_add_co_ci_u32_e64 v183, null, s65, v20, vcc_lo
	v_add_co_u32 v184, vcc_lo, v0, 2
	buffer_load_dword v0, off, s[96:99], 0 offset:168 ; 4-byte Folded Reload
	v_add_co_ci_u32_e64 v185, null, 0, v1, vcc_lo
	s_clause 0x1
	buffer_load_dword v1, off, s[96:99], 0 offset:172
	buffer_load_dword v20, off, s[96:99], 0 offset:160
	s_waitcnt vmcnt(2)
	v_add_co_u32 v0, vcc_lo, s64, v0
	s_waitcnt vmcnt(1)
	v_add_co_ci_u32_e64 v1, null, s65, v1, vcc_lo
	s_waitcnt vmcnt(0)
	v_add_co_u32 v186, vcc_lo, s64, v20
	buffer_load_dword v20, off, s[96:99], 0 offset:164 ; 4-byte Folded Reload
	s_waitcnt vmcnt(0)
	v_add_co_ci_u32_e64 v187, null, s65, v20, vcc_lo
	buffer_load_dword v20, off, s[96:99], 0 offset:216 ; 4-byte Folded Reload
	v_add_co_u32 v188, vcc_lo, v0, 2
	v_add_co_ci_u32_e64 v189, null, 0, v1, vcc_lo
	v_add_co_u32 v0, vcc_lo, s12, v62
	v_add_co_ci_u32_e64 v1, null, s13, v44, vcc_lo
	s_mov_b32 s12, 0xbbbac73d
	s_waitcnt vmcnt(0)
	v_add_co_u32 v44, vcc_lo, s64, v20
	buffer_load_dword v20, off, s[96:99], 0 offset:220 ; 4-byte Folded Reload
	s_waitcnt vmcnt(0)
	v_add_co_ci_u32_e64 v55, null, s65, v20, vcc_lo
	v_add_co_u32 v20, vcc_lo, 0x7e, v0
	v_add_co_ci_u32_e64 v21, null, 0, v1, vcc_lo
	v_add_co_u32 v0, vcc_lo, v44, 2
	buffer_load_dword v1, off, s[96:99], 0 offset:212 ; 4-byte Folded Reload
	buffer_store_dword v0, off, s[96:99], 0 offset:408 ; 4-byte Folded Spill
	v_add_co_ci_u32_e64 v0, null, 0, v55, vcc_lo
	buffer_store_dword v0, off, s[96:99], 0 offset:412 ; 4-byte Folded Spill
	buffer_load_dword v0, off, s[96:99], 0 offset:208 ; 4-byte Folded Reload
	s_waitcnt vmcnt(0)
	v_add_co_u32 v0, vcc_lo, s64, v0
	v_add_co_ci_u32_e64 v1, null, s65, v1, vcc_lo
	v_add_co_u32 v44, vcc_lo, s64, v36
	buffer_load_dword v36, off, s[96:99], 0 offset:196 ; 4-byte Folded Reload
	buffer_store_dword v44, off, s[96:99], 0 offset:416 ; 4-byte Folded Spill
	s_waitcnt vmcnt(0)
	v_add_co_ci_u32_e64 v44, null, s65, v36, vcc_lo
	v_add_co_u32 v0, vcc_lo, v0, 2
	buffer_store_dword v44, off, s[96:99], 0 offset:420 ; 4-byte Folded Spill
	buffer_store_dword v0, off, s[96:99], 0 offset:424 ; 4-byte Folded Spill
	v_add_co_ci_u32_e64 v0, null, 0, v1, vcc_lo
	s_clause 0x1
	buffer_load_dword v1, off, s[96:99], 0 offset:204
	buffer_load_dword v36, off, s[96:99], 0 offset:184
	buffer_store_dword v0, off, s[96:99], 0 offset:428 ; 4-byte Folded Spill
	buffer_load_dword v0, off, s[96:99], 0 offset:200 ; 4-byte Folded Reload
	s_waitcnt vmcnt(0)
	v_add_co_u32 v0, vcc_lo, s64, v0
	v_add_co_ci_u32_e64 v1, null, s65, v1, vcc_lo
	v_add_co_u32 v44, vcc_lo, s64, v36
	buffer_load_dword v36, off, s[96:99], 0 offset:188 ; 4-byte Folded Reload
	buffer_store_dword v44, off, s[96:99], 0 offset:432 ; 4-byte Folded Spill
	s_waitcnt vmcnt(0)
	v_add_co_ci_u32_e64 v44, null, s65, v36, vcc_lo
	v_add_co_u32 v0, vcc_lo, v0, 2
	buffer_store_dword v44, off, s[96:99], 0 offset:436 ; 4-byte Folded Spill
	buffer_store_dword v0, off, s[96:99], 0 offset:440 ; 4-byte Folded Spill
	v_add_co_ci_u32_e64 v0, null, 0, v1, vcc_lo
	s_clause 0x1
	buffer_load_dword v1, off, s[96:99], 0 offset:236
	buffer_load_dword v36, off, s[96:99], 0 offset:224
	;; [unrolled: 17-line block ×6, first 2 shown]
	buffer_store_dword v0, off, s[96:99], 0 offset:508 ; 4-byte Folded Spill
	buffer_load_dword v0, off, s[96:99], 0 offset:288 ; 4-byte Folded Reload
	s_waitcnt vmcnt(0)
	v_add_co_u32 v0, vcc_lo, s64, v0
	v_add_co_ci_u32_e64 v1, null, s65, v1, vcc_lo
	v_add_co_u32 v44, vcc_lo, s64, v36
	buffer_load_dword v36, off, s[96:99], 0 offset:276 ; 4-byte Folded Reload
	buffer_store_dword v44, off, s[96:99], 0 offset:512 ; 4-byte Folded Spill
	s_waitcnt vmcnt(0)
	v_add_co_ci_u32_e64 v44, null, s65, v36, vcc_lo
	v_add_co_u32 v0, vcc_lo, v0, 2
	buffer_load_dword v36, off, s[96:99], 0 offset:304 ; 4-byte Folded Reload
	buffer_store_dword v44, off, s[96:99], 0 offset:516 ; 4-byte Folded Spill
	buffer_store_dword v0, off, s[96:99], 0 offset:520 ; 4-byte Folded Spill
	v_add_co_ci_u32_e64 v0, null, 0, v1, vcc_lo
	buffer_load_dword v1, off, s[96:99], 0 offset:328 ; 4-byte Folded Reload
	buffer_store_dword v0, off, s[96:99], 0 offset:148 ; 4-byte Folded Spill
	v_add_co_u32 v0, vcc_lo, s64, v222
	v_mov_b32_e32 v222, v34
	buffer_load_dword v34, off, s[96:99], 0 offset:312 ; 4-byte Folded Reload
	s_waitcnt vmcnt(1)
	v_add_co_ci_u32_e64 v1, null, s65, v1, vcc_lo
	v_add_co_u32 v44, vcc_lo, s64, v36
	buffer_load_dword v36, off, s[96:99], 0 offset:308 ; 4-byte Folded Reload
	buffer_store_dword v44, off, s[96:99], 0 offset:152 ; 4-byte Folded Spill
	s_waitcnt vmcnt(0)
	v_add_co_ci_u32_e64 v44, null, s65, v36, vcc_lo
	v_add_co_u32 v0, vcc_lo, v0, 2
	buffer_store_dword v44, off, s[96:99], 0 offset:156 ; 4-byte Folded Spill
	buffer_store_dword v0, off, s[96:99], 0 offset:160 ; 4-byte Folded Spill
	v_add_co_ci_u32_e64 v0, null, 0, v1, vcc_lo
	buffer_load_dword v1, off, s[96:99], 0 offset:324 ; 4-byte Folded Reload
	buffer_store_dword v0, off, s[96:99], 0 offset:164 ; 4-byte Folded Spill
	buffer_load_dword v0, off, s[96:99], 0 offset:320 ; 4-byte Folded Reload
	s_waitcnt vmcnt(0)
	v_add_co_u32 v0, vcc_lo, s64, v0
	v_add_co_ci_u32_e64 v1, null, s65, v1, vcc_lo
	v_add_co_u32 v34, vcc_lo, s64, v34
	buffer_store_dword v34, off, s[96:99], 0 offset:168 ; 4-byte Folded Spill
	buffer_load_dword v34, off, s[96:99], 0 offset:316 ; 4-byte Folded Reload
	s_waitcnt vmcnt(0)
	v_add_co_ci_u32_e64 v34, null, s65, v34, vcc_lo
	v_add_co_u32 v0, vcc_lo, v0, 2
	buffer_store_dword v34, off, s[96:99], 0 offset:172 ; 4-byte Folded Spill
	buffer_load_dword v34, off, s[96:99], 0 offset:332 ; 4-byte Folded Reload
	buffer_store_dword v0, off, s[96:99], 0 offset:176 ; 4-byte Folded Spill
	v_add_co_ci_u32_e64 v0, null, 0, v1, vcc_lo
	buffer_store_dword v0, off, s[96:99], 0 offset:180 ; 4-byte Folded Spill
	v_add_co_u32 v0, vcc_lo, s64, v203
	v_add_co_ci_u32_e64 v1, null, s65, v196, vcc_lo
	s_waitcnt vmcnt(0)
	v_add_co_u32 v34, vcc_lo, s64, v34
	buffer_store_dword v34, off, s[96:99], 0 offset:184 ; 4-byte Folded Spill
	buffer_load_dword v34, off, s[96:99], 0 offset:336 ; 4-byte Folded Reload
	s_waitcnt vmcnt(0)
	v_add_co_ci_u32_e64 v34, null, s65, v34, vcc_lo
	v_add_co_u32 v0, vcc_lo, v0, 2
	buffer_store_dword v34, off, s[96:99], 0 offset:188 ; 4-byte Folded Spill
	buffer_load_dword v34, off, s[96:99], 0 offset:340 ; 4-byte Folded Reload
	buffer_store_dword v0, off, s[96:99], 0 offset:192 ; 4-byte Folded Spill
	v_add_co_ci_u32_e64 v0, null, 0, v1, vcc_lo
	buffer_store_dword v0, off, s[96:99], 0 offset:196 ; 4-byte Folded Spill
	v_add_co_u32 v0, vcc_lo, s64, v198
	v_add_co_ci_u32_e64 v1, null, s65, v204, vcc_lo
	s_waitcnt vmcnt(0)
	v_add_co_u32 v34, vcc_lo, s64, v34
	buffer_store_dword v34, off, s[96:99], 0 offset:200 ; 4-byte Folded Spill
	v_add_co_ci_u32_e64 v34, null, s65, v199, vcc_lo
	v_add_co_u32 v0, vcc_lo, v0, 2
	buffer_store_dword v34, off, s[96:99], 0 offset:204 ; 4-byte Folded Spill
	buffer_store_dword v0, off, s[96:99], 0 offset:208 ; 4-byte Folded Spill
	v_add_co_ci_u32_e64 v0, null, 0, v1, vcc_lo
	buffer_store_dword v0, off, s[96:99], 0 offset:212 ; 4-byte Folded Spill
	v_add_co_u32 v0, vcc_lo, s64, v211
	v_add_co_ci_u32_e64 v1, null, s65, v210, vcc_lo
	v_add_co_u32 v34, vcc_lo, s64, v195
	buffer_store_dword v34, off, s[96:99], 0 offset:216 ; 4-byte Folded Spill
	v_add_co_ci_u32_e64 v34, null, s65, v205, vcc_lo
	v_add_co_u32 v0, vcc_lo, v0, 2
	buffer_store_dword v34, off, s[96:99], 0 offset:220 ; 4-byte Folded Spill
	buffer_store_dword v0, off, s[96:99], 0 offset:224 ; 4-byte Folded Spill
	v_add_co_ci_u32_e64 v0, null, 0, v1, vcc_lo
	buffer_store_dword v0, off, s[96:99], 0 offset:228 ; 4-byte Folded Spill
	v_add_co_u32 v0, vcc_lo, s64, v212
	v_add_co_ci_u32_e64 v1, null, s65, v208, vcc_lo
	;; [unrolled: 10-line block ×3, first 2 shown]
	v_add_co_u32 v34, vcc_lo, s64, v194
	buffer_store_dword v34, off, s[96:99], 0 offset:248 ; 4-byte Folded Spill
	v_add_co_ci_u32_e64 v34, null, s65, v213, vcc_lo
	v_add_co_u32 v192, vcc_lo, v0, 2
	v_add_co_ci_u32_e64 v193, null, 0, v1, vcc_lo
	v_add_co_u32 v0, vcc_lo, s64, v216
	buffer_store_dword v34, off, s[96:99], 0 offset:252 ; 4-byte Folded Spill
	v_add_co_ci_u32_e64 v1, null, s65, v220, vcc_lo
	v_add_co_u32 v34, vcc_lo, s64, v215
	buffer_store_dword v34, off, s[96:99], 0 offset:256 ; 4-byte Folded Spill
	;; [unrolled: 3-line block ×3, first 2 shown]
	buffer_store_dword v0, off, s[96:99], 0 offset:264 ; 4-byte Folded Spill
	v_add_co_ci_u32_e64 v0, null, 0, v1, vcc_lo
	buffer_store_dword v0, off, s[96:99], 0 offset:268 ; 4-byte Folded Spill
	v_add_co_u32 v0, vcc_lo, s64, v234
	v_add_co_ci_u32_e64 v1, null, s65, v190, vcc_lo
	v_add_co_u32 v34, vcc_lo, s64, v191
	buffer_store_dword v34, off, s[96:99], 0 offset:272 ; 4-byte Folded Spill
	v_add_co_ci_u32_e64 v34, null, s65, v197, vcc_lo
	v_add_co_u32 v0, vcc_lo, v0, 2
	buffer_store_dword v34, off, s[96:99], 0 offset:276 ; 4-byte Folded Spill
	buffer_store_dword v0, off, s[96:99], 0 offset:280 ; 4-byte Folded Spill
	v_add_co_ci_u32_e64 v0, null, 0, v1, vcc_lo
	buffer_store_dword v0, off, s[96:99], 0 offset:284 ; 4-byte Folded Spill
	v_add_co_u32 v0, vcc_lo, s64, v230
	v_add_co_ci_u32_e64 v1, null, s65, v227, vcc_lo
	v_add_co_u32 v34, vcc_lo, s64, v200
	buffer_store_dword v34, off, s[96:99], 0 offset:288 ; 4-byte Folded Spill
	v_add_co_ci_u32_e64 v34, null, s65, v202, vcc_lo
	v_add_co_u32 v0, vcc_lo, v0, 2
	buffer_store_dword v34, off, s[96:99], 0 offset:292 ; 4-byte Folded Spill
	;; [unrolled: 10-line block ×6, first 2 shown]
	buffer_store_dword v0, off, s[96:99], 0 offset:360 ; 4-byte Folded Spill
	v_add_co_ci_u32_e64 v0, null, 0, v1, vcc_lo
	buffer_store_dword v0, off, s[96:99], 0 offset:364 ; 4-byte Folded Spill
	v_add_co_u32 v0, vcc_lo, s64, v221
	v_add_co_ci_u32_e64 v1, null, s65, v217, vcc_lo
	v_add_co_u32 v34, vcc_lo, s64, v244
	v_add_co_ci_u32_e64 v224, null, s65, v246, vcc_lo
	;; [unrolled: 2-line block ×3, first 2 shown]
	v_add_co_u32 v0, vcc_lo, s64, v228
	buffer_store_dword v34, off, s[96:99], 0 offset:368 ; 4-byte Folded Spill
	v_add_co_ci_u32_e64 v1, null, s65, v92, vcc_lo
	v_add_co_u32 v34, vcc_lo, s64, v233
	v_mov_b32_e32 v221, 0
	buffer_store_dword v34, off, s[96:99], 0 offset:372 ; 4-byte Folded Spill
	v_add_co_ci_u32_e64 v34, null, s65, v223, vcc_lo
	v_add_co_u32 v228, vcc_lo, v0, 2
	v_add_co_ci_u32_e64 v0, null, 0, v1, vcc_lo
	buffer_store_dword v34, off, s[96:99], 0 offset:376 ; 4-byte Folded Spill
	buffer_store_dword v0, off, s[96:99], 0 offset:380 ; 4-byte Folded Spill
	v_add_co_u32 v0, vcc_lo, s64, v67
	v_add_co_ci_u32_e64 v1, null, s65, v66, vcc_lo
	v_add_co_u32 v230, vcc_lo, s64, v254
	v_add_co_ci_u32_e64 v227, null, s65, v255, vcc_lo
	;; [unrolled: 2-line block ×101, first 2 shown]
	v_add_co_u32 v216, vcc_lo, v18, 2
	v_mov_b32_e32 v18, v22
	v_mov_b32_e32 v22, 0
	v_add_co_ci_u32_e64 v220, null, 0, v19, vcc_lo
	v_add_co_u32 v219, vcc_lo, s64, v115
	buffer_store_dword v22, off, s[96:99], 0 offset:140 ; 4-byte Folded Spill
	buffer_load_dword v22, off, s[96:99], 0 offset:696 ; 4-byte Folded Reload
	v_mov_b32_e32 v19, v23
	v_add_co_ci_u32_e64 v223, null, s65, v112, vcc_lo
	v_mov_b32_e32 v54, 0xfeffffff
	v_mov_b32_e32 v106, 0x10001
	buffer_store_dword v24, off, s[96:99], 0 offset:532 ; 4-byte Folded Spill
	s_waitcnt vmcnt(0)
	v_and_b32_e32 v105, 4, v22
	v_mov_b32_e32 v22, 0
	buffer_store_dword v22, off, s[96:99], 0 offset:528 ; 4-byte Folded Spill
	v_mov_b32_e32 v22, 0
	buffer_store_dword v22, off, s[96:99], 0 offset:536 ; 4-byte Folded Spill
	v_mov_b32_e32 v22, 0
	buffer_store_dword v22, off, s[96:99], 0 offset:524 ; 4-byte Folded Spill
	buffer_store_dword v2, off, s[96:99], 0 offset:632 ; 4-byte Folded Spill
	buffer_store_dword v3, off, s[96:99], 0 offset:636 ; 4-byte Folded Spill
	;; [unrolled: 1-line block ×16, first 2 shown]
.LBB27_15:                              ; =>This Inner Loop Header: Depth=1
	buffer_store_dword v18, off, s[96:99], 0 offset:388 ; 4-byte Folded Spill
	v_add_co_u32 v18, vcc_lo, v18, s9
	buffer_store_dword v19, off, s[96:99], 0 offset:392 ; 4-byte Folded Spill
	v_add_co_ci_u32_e64 v19, null, 0, v19, vcc_lo
	v_mov_b32_e32 v124, 0
	s_clause 0x8
	global_load_dword v22, v[18:19], off offset:2
	global_load_dword v23, v[18:19], off offset:10
	;; [unrolled: 1-line block ×9, first 2 shown]
	buffer_store_dword v20, off, s[96:99], 0 offset:400 ; 4-byte Folded Spill
	v_add_co_u32 v20, vcc_lo, v20, s9
	buffer_store_dword v21, off, s[96:99], 0 offset:404 ; 4-byte Folded Spill
	v_add_co_ci_u32_e64 v21, null, 0, v21, vcc_lo
	global_load_dword v112, v[18:19], off offset:82
	s_clause 0x1
	global_load_ushort v113, v[20:21], off offset:-126
	global_load_ushort v114, v[20:21], off offset:-108
	s_clause 0x1
	global_load_dword v115, v[18:19], off offset:92
	global_load_dword v116, v[18:19], off offset:100
	s_clause 0x1
	global_load_ushort v117, v[20:21], off offset:-90
	global_load_ushort v118, v[20:21], off offset:-72
	s_clause 0x1
	global_load_dword v119, v[18:19], off offset:110
	;; [unrolled: 6-line block ×3, first 2 shown]
	global_load_dword v18, v[18:19], off offset:136
	s_clause 0x1
	global_load_ushort v19, v[20:21], off offset:-18
	global_load_ushort v20, v[20:21], off
	s_clause 0x1
	buffer_load_dword v164, off, s[96:99], 0 offset:12
	buffer_load_dword v165, off, s[96:99], 0 offset:16
	v_mov_b32_e32 v21, 0
	v_mov_b32_e32 v125, 0
	v_mov_b32_e32 v126, 0
	v_mov_b32_e32 v127, 0
	v_mov_b32_e32 v128, 0
	v_mov_b32_e32 v130, 0
	v_mov_b32_e32 v129, 0
	v_mov_b32_e32 v131, 0
	v_mov_b32_e32 v132, 0
	v_mov_b32_e32 v134, 0
	v_mov_b32_e32 v137, 0
	v_mov_b32_e32 v135, 0
	v_mov_b32_e32 v136, 0
	v_mov_b32_e32 v138, 0
	v_mov_b32_e32 v139, 0
	v_mov_b32_e32 v140, 0
	v_mov_b32_e32 v141, 0
	v_mov_b32_e32 v142, 0
	v_mov_b32_e32 v143, 0
	v_mov_b32_e32 v144, 0
	v_mov_b32_e32 v145, 0
	v_mov_b32_e32 v146, 0
	v_mov_b32_e32 v147, 0
	v_mov_b32_e32 v149, 0
	v_mov_b32_e32 v148, 0
	v_mov_b32_e32 v150, 0
	v_mov_b32_e32 v151, 0
	v_mov_b32_e32 v152, 0
	v_mov_b32_e32 v153, 0
	v_mov_b32_e32 v154, 0
	v_mov_b32_e32 v155, 0
	s_waitcnt vmcnt(25)
	v_and_b32_e32 v156, 0xf0f0f0f, v22
	s_waitcnt vmcnt(24)
	v_and_b32_e32 v157, 0xf0f0f0f, v23
	v_lshrrev_b32_e32 v22, 4, v22
	v_lshrrev_b32_e32 v23, 4, v23
	s_waitcnt vmcnt(23)
	v_and_b32_e32 v158, 0xf0f0f0f, v24
	v_lshrrev_b32_e32 v24, 4, v24
	s_waitcnt vmcnt(22)
	v_and_b32_e32 v159, 0xf0f0f0f, v25
	v_and_b32_e32 v22, 0xf0f0f0f, v22
	;; [unrolled: 1-line block ×3, first 2 shown]
	v_lshrrev_b32_e32 v25, 4, v25
	s_waitcnt vmcnt(21)
	v_and_b32_e32 v160, 0xf0f0f0f, v107
	s_waitcnt vmcnt(20)
	v_and_b32_e32 v161, 0xf0f0f0f, v108
	v_lshrrev_b32_e32 v107, 4, v107
	s_waitcnt vmcnt(18)
	v_and_b32_e32 v163, 0xf0f0f0f, v110
	v_and_b32_e32 v25, 0xf0f0f0f, v25
	v_lshrrev_b32_e32 v108, 4, v108
	v_and_b32_e32 v162, 0xf0f0f0f, v109
	s_waitcnt vmcnt(1)
	v_dot4c_i32_i8 v21, v156, v164
	s_waitcnt vmcnt(0)
	v_dot4c_i32_i8 v124, v157, v165
	s_clause 0x1
	buffer_load_dword v164, off, s[96:99], 0 offset:20
	buffer_load_dword v165, off, s[96:99], 0 offset:24
	v_and_b32_e32 v108, 0xf0f0f0f, v108
	v_lshrrev_b32_e32 v109, 4, v109
	v_cvt_f32_i32_e32 v21, v21
	v_cvt_f32_i32_e32 v124, v124
	v_lshrrev_b32_e32 v110, 4, v110
	v_and_b32_e32 v156, 0xf0f0f0f, v111
	v_lshrrev_b32_e32 v111, 4, v111
	v_fma_f32 v21, v2, v21, -v3
	v_and_b32_e32 v110, 0xf0f0f0f, v110
	v_fma_mix_f32 v21, v21, v113, 0 op_sel_hi:[0,1,0]
	s_waitcnt vmcnt(1)
	v_dot4c_i32_i8 v125, v22, v164
	s_waitcnt vmcnt(0)
	v_dot4c_i32_i8 v126, v23, v165
	s_clause 0x1
	buffer_load_dword v164, off, s[96:99], 0 offset:28
	buffer_load_dword v165, off, s[96:99], 0 offset:32
	v_fma_f32 v23, v2, v124, -v3
	v_and_b32_e32 v22, 0xf0f0f0f, v112
	v_cvt_f32_i32_e32 v124, v125
	v_cvt_f32_i32_e32 v125, v126
	v_fma_mix_f32 v21, v23, v113, v21 op_sel_hi:[0,1,0]
	v_and_b32_e32 v23, 0xf0f0f0f, v24
	v_fma_f32 v124, v2, v124, -v3
	v_fma_f32 v125, v2, v125, -v3
	v_fma_mix_f32 v21, v124, v113, v21 op_sel_hi:[0,1,0]
	v_fma_mix_f32 v21, v125, v113, v21 op_sel_hi:[0,1,0]
	s_waitcnt vmcnt(1)
	v_dot4c_i32_i8 v127, v158, v164
	s_waitcnt vmcnt(0)
	v_dot4c_i32_i8 v128, v159, v165
	v_cvt_f32_i32_e32 v24, v127
	s_clause 0x1
	buffer_load_dword v126, off, s[96:99], 0 offset:36
	buffer_load_dword v127, off, s[96:99], 0 offset:40
	v_cvt_f32_i32_e32 v124, v128
	s_waitcnt vmcnt(1)
	v_dot4c_i32_i8 v129, v23, v126
	s_waitcnt vmcnt(0)
	v_dot4c_i32_i8 v130, v25, v127
	v_fma_f32 v25, v4, v124, -v5
	s_clause 0x1
	buffer_load_dword v124, off, s[96:99], 0 offset:44
	buffer_load_dword v125, off, s[96:99], 0 offset:48
	v_fma_f32 v23, v4, v24, -v5
	v_lshrrev_b32_e32 v24, 4, v112
	v_cvt_f32_i32_e32 v112, v129
	v_cvt_f32_i32_e32 v113, v130
	v_fma_mix_f32 v21, v23, v114, v21 op_sel_hi:[0,1,0]
	v_and_b32_e32 v23, 0xf0f0f0f, v115
	v_fma_f32 v112, v4, v112, -v5
	v_fma_f32 v113, v4, v113, -v5
	v_and_b32_e32 v24, 0xf0f0f0f, v24
	v_fma_mix_f32 v21, v25, v114, v21 op_sel_hi:[0,1,0]
	v_and_b32_e32 v25, 0xf0f0f0f, v107
	v_fma_mix_f32 v21, v112, v114, v21 op_sel_hi:[0,1,0]
	v_fma_mix_f32 v21, v113, v114, v21 op_sel_hi:[0,1,0]
	s_waitcnt vmcnt(1)
	v_dot4c_i32_i8 v131, v160, v124
	s_waitcnt vmcnt(0)
	v_dot4c_i32_i8 v132, v161, v125
	s_clause 0x3
	buffer_load_dword v124, off, s[96:99], 0 offset:52
	buffer_load_dword v125, off, s[96:99], 0 offset:56
	;; [unrolled: 1-line block ×4, first 2 shown]
	v_cvt_f32_i32_e32 v107, v131
	v_cvt_f32_i32_e32 v112, v132
	s_waitcnt vmcnt(3)
	v_dot4c_i32_i8 v134, v25, v124
	v_fma_f32 v25, v6, v107, -v7
	s_waitcnt vmcnt(0)
	v_dot4c_i32_i8 v137, v163, v114
	v_dot4c_i32_i8 v135, v108, v125
	v_fma_f32 v108, v6, v112, -v7
	v_cvt_f32_i32_e32 v112, v134
	v_fma_mix_f32 v21, v25, v117, v21 op_sel_hi:[0,1,0]
	v_lshrrev_b32_e32 v25, 4, v115
	s_clause 0x1
	buffer_load_dword v114, off, s[96:99], 0 offset:68
	buffer_load_dword v115, off, s[96:99], 0 offset:72
	v_dot4c_i32_i8 v136, v162, v113
	v_cvt_f32_i32_e32 v113, v135
	v_fma_f32 v112, v6, v112, -v7
	v_fma_mix_f32 v21, v108, v117, v21 op_sel_hi:[0,1,0]
	v_and_b32_e32 v108, 0xf0f0f0f, v109
	v_cvt_f32_i32_e32 v109, v136
	v_fma_f32 v113, v6, v113, -v7
	v_and_b32_e32 v107, 0xf0f0f0f, v116
	v_fma_mix_f32 v21, v112, v117, v21 op_sel_hi:[0,1,0]
	v_cvt_f32_i32_e32 v112, v137
	v_fma_mix_f32 v21, v113, v117, v21 op_sel_hi:[0,1,0]
	s_waitcnt vmcnt(1)
	v_dot4c_i32_i8 v138, v108, v114
	s_clause 0x1
	buffer_load_dword v113, off, s[96:99], 0 offset:76
	buffer_load_dword v114, off, s[96:99], 0 offset:80
	s_waitcnt vmcnt(2)
	v_dot4c_i32_i8 v139, v110, v115
	v_fma_f32 v108, v8, v109, -v9
	v_fma_f32 v110, v8, v112, -v9
	v_cvt_f32_i32_e32 v112, v138
	v_lshrrev_b32_e32 v109, 4, v116
	v_fma_mix_f32 v21, v108, v118, v21 op_sel_hi:[0,1,0]
	v_and_b32_e32 v108, 0xf0f0f0f, v119
	v_fma_f32 v112, v8, v112, -v9
	v_fma_mix_f32 v21, v110, v118, v21 op_sel_hi:[0,1,0]
	v_fma_mix_f32 v21, v112, v118, v21 op_sel_hi:[0,1,0]
	s_waitcnt vmcnt(1)
	v_dot4c_i32_i8 v140, v156, v113
	v_cvt_f32_i32_e32 v113, v139
	s_waitcnt vmcnt(0)
	v_dot4c_i32_i8 v141, v22, v114
	v_and_b32_e32 v22, 0xf0f0f0f, v111
	v_cvt_f32_i32_e32 v110, v140
	v_fma_f32 v111, v8, v113, -v9
	s_clause 0x1
	buffer_load_dword v113, off, s[96:99], 0 offset:84
	buffer_load_dword v114, off, s[96:99], 0 offset:88
	v_cvt_f32_i32_e32 v112, v141
	v_fma_mix_f32 v21, v111, v118, v21 op_sel_hi:[0,1,0]
	s_waitcnt vmcnt(1)
	v_dot4c_i32_i8 v142, v22, v113
	s_waitcnt vmcnt(0)
	v_dot4c_i32_i8 v143, v24, v114
	v_fma_f32 v24, v10, v112, -v11
	s_clause 0x1
	buffer_load_dword v112, off, s[96:99], 0 offset:92
	buffer_load_dword v113, off, s[96:99], 0 offset:96
	v_fma_f32 v22, v10, v110, -v11
	v_cvt_f32_i32_e32 v111, v142
	v_and_b32_e32 v110, 0xf0f0f0f, v120
	v_fma_mix_f32 v21, v22, v121, v21 op_sel_hi:[0,1,0]
	v_fma_f32 v111, v10, v111, -v11
	v_lshrrev_b32_e32 v22, 4, v119
	v_fma_mix_f32 v21, v24, v121, v21 op_sel_hi:[0,1,0]
	v_and_b32_e32 v24, 0xf0f0f0f, v25
	v_and_b32_e32 v22, 0xf0f0f0f, v22
	v_fma_mix_f32 v21, v111, v121, v21 op_sel_hi:[0,1,0]
	s_waitcnt vmcnt(1)
	v_dot4c_i32_i8 v144, v23, v112
	s_clause 0x1
	buffer_load_dword v111, off, s[96:99], 0 offset:100
	buffer_load_dword v112, off, s[96:99], 0 offset:104
	s_waitcnt vmcnt(2)
	v_dot4c_i32_i8 v145, v107, v113
	v_and_b32_e32 v107, 0xf0f0f0f, v109
	v_cvt_f32_i32_e32 v23, v143
	v_cvt_f32_i32_e32 v25, v144
	;; [unrolled: 1-line block ×3, first 2 shown]
	v_fma_f32 v23, v10, v23, -v11
	v_fma_mix_f32 v21, v23, v121, v21 op_sel_hi:[0,1,0]
	v_lshrrev_b32_e32 v23, 4, v120
	v_and_b32_e32 v23, 0xf0f0f0f, v23
	s_waitcnt vmcnt(1)
	v_dot4c_i32_i8 v146, v24, v111
	s_waitcnt vmcnt(0)
	v_dot4c_i32_i8 v147, v107, v112
	s_clause 0x1
	buffer_load_dword v111, off, s[96:99], 0 offset:108
	buffer_load_dword v112, off, s[96:99], 0 offset:112
	v_fma_f32 v24, v12, v25, -v13
	v_fma_f32 v25, v12, v109, -v13
	v_cvt_f32_i32_e32 v107, v146
	v_fma_mix_f32 v21, v24, v122, v21 op_sel_hi:[0,1,0]
	v_and_b32_e32 v24, 0xf0f0f0f, v123
	v_fma_f32 v107, v12, v107, -v13
	v_fma_mix_f32 v21, v25, v122, v21 op_sel_hi:[0,1,0]
	v_fma_mix_f32 v21, v107, v122, v21 op_sel_hi:[0,1,0]
	s_waitcnt vmcnt(1)
	v_dot4c_i32_i8 v148, v108, v111
	s_waitcnt vmcnt(0)
	v_dot4c_i32_i8 v149, v110, v112
	s_clause 0x1
	buffer_load_dword v109, off, s[96:99], 0 offset:116
	buffer_load_dword v110, off, s[96:99], 0 offset:120
	v_cvt_f32_i32_e32 v108, v147
	v_cvt_f32_i32_e32 v25, v148
	;; [unrolled: 1-line block ×3, first 2 shown]
	v_fma_f32 v108, v12, v108, -v13
	v_fma_mix_f32 v21, v108, v122, v21 op_sel_hi:[0,1,0]
	s_waitcnt vmcnt(1)
	v_dot4c_i32_i8 v150, v22, v109
	s_clause 0x1
	buffer_load_dword v108, off, s[96:99], 0 offset:124
	buffer_load_dword v109, off, s[96:99], 0 offset:128
	v_fma_f32 v22, v14, v25, -v15
	s_waitcnt vmcnt(2)
	v_dot4c_i32_i8 v151, v23, v110
	v_fma_f32 v23, v14, v107, -v15
	v_cvt_f32_i32_e32 v107, v150
	v_and_b32_e32 v25, 0xf0f0f0f, v18
	v_fma_mix_f32 v21, v22, v19, v21 op_sel_hi:[0,1,0]
	v_lshrrev_b32_e32 v22, 4, v123
	v_lshrrev_b32_e32 v18, 4, v18
	v_fma_f32 v107, v14, v107, -v15
	v_fma_mix_f32 v21, v23, v19, v21 op_sel_hi:[0,1,0]
	v_and_b32_e32 v22, 0xf0f0f0f, v22
	v_and_b32_e32 v18, 0xf0f0f0f, v18
	v_fma_mix_f32 v21, v107, v19, v21 op_sel_hi:[0,1,0]
	s_waitcnt vmcnt(1)
	v_dot4c_i32_i8 v152, v24, v108
	s_clause 0x1
	buffer_load_dword v107, off, s[96:99], 0 offset:132
	buffer_load_dword v108, off, s[96:99], 0 offset:136
	v_cvt_f32_i32_e32 v24, v151
	s_waitcnt vmcnt(2)
	v_dot4c_i32_i8 v153, v25, v109
	v_cvt_f32_i32_e32 v23, v152
	v_fma_f32 v24, v14, v24, -v15
	v_cvt_f32_i32_e32 v25, v153
	v_fma_f32 v23, v16, v23, -v17
	v_fma_mix_f32 v19, v24, v19, v21 op_sel_hi:[0,1,0]
	v_fma_mix_f32 v19, v23, v20, v19 op_sel_hi:[0,1,0]
	s_waitcnt vmcnt(1)
	v_dot4c_i32_i8 v154, v22, v107
	s_waitcnt vmcnt(0)
	v_dot4c_i32_i8 v155, v18, v108
	v_fma_f32 v18, v16, v25, -v17
	v_cvt_f32_i32_e32 v21, v154
	v_cvt_f32_i32_e32 v22, v155
	v_fma_mix_f32 v18, v18, v20, v19 op_sel_hi:[0,1,0]
	v_fma_f32 v19, v16, v21, -v17
	v_fma_f32 v21, v16, v22, -v17
	v_fma_mix_f32 v18, v19, v20, v18 op_sel_hi:[0,1,0]
	buffer_load_dword v19, off, s[96:99], 0 offset:144 ; 4-byte Folded Reload
	v_fma_mix_f32 v18, v21, v20, v18 op_sel_hi:[0,1,0]
	s_waitcnt vmcnt(0)
	ds_bpermute_b32 v19, v19, v18
	s_waitcnt lgkmcnt(0)
	v_add_f32_e32 v18, v18, v19
                                        ; implicit-def: $vgpr19
	v_cmp_ngt_f32_e64 s13, 0x3f200000, |v18|
	s_and_saveexec_b32 s14, s13
	s_xor_b32 s13, exec_lo, s14
	s_cbranch_execz .LBB27_17
; %bb.16:                               ;   in Loop: Header=BB27_15 Depth=1
	v_add_f32_e64 v19, |v18|, |v18|
	v_mul_f32_e32 v20, 0x3fb8aa3b, v19
	v_cmp_ngt_f32_e32 vcc_lo, 0xc2ce8ed0, v19
	v_rndne_f32_e32 v21, v20
	v_fma_f32 v22, 0x3fb8aa3b, v19, -v20
	v_sub_f32_e32 v20, v20, v21
	v_fmac_f32_e32 v22, 0x32a5705f, v19
	v_cvt_i32_f32_e32 v21, v21
	v_add_f32_e32 v20, v20, v22
	v_exp_f32_e32 v20, v20
	v_ldexp_f32 v20, v20, v21
	v_cndmask_b32_e32 v20, 0, v20, vcc_lo
	v_cmp_nlt_f32_e32 vcc_lo, 0x42b17218, v19
	v_cndmask_b32_e32 v19, 0x7f800000, v20, vcc_lo
	v_add_f32_e32 v19, 1.0, v19
	v_rcp_f32_e32 v19, v19
	v_fma_f32 v19, v19, -2.0, 1.0
.LBB27_17:                              ;   in Loop: Header=BB27_15 Depth=1
	s_andn2_saveexec_b32 s13, s13
	s_cbranch_execz .LBB27_19
; %bb.18:                               ;   in Loop: Header=BB27_15 Depth=1
	v_mul_f32_e32 v19, v18, v18
	v_fmaak_f32 v20, s12, v19, 0x3ca908c9
	v_fmaak_f32 v20, v19, v20, 0xbd5c1c4e
	v_fmaak_f32 v20, v19, v20, 0x3e088382
	v_fmaak_f32 v20, v19, v20, 0xbeaaaa99
	v_mul_f32_e64 v20, |v18|, v20
	v_fma_f32 v19, v19, v20, |v18|
.LBB27_19:                              ;   in Loop: Header=BB27_15 Depth=1
	s_or_b32 exec_lo, exec_lo, s13
	v_bfi_b32 v18, 0x7fffffff, v19, v18
	s_andn2_b32 vcc_lo, exec_lo, s77
	v_mul_f32_e32 v18, s87, v18
	s_cbranch_vccnz .LBB27_21
; %bb.20:                               ;   in Loop: Header=BB27_15 Depth=1
	global_load_ushort v19, v[58:59], off offset:-2
	buffer_load_dword v20, off, s[96:99], 0 offset:604 ; 4-byte Folded Reload
	s_waitcnt vmcnt(0)
	v_fma_mix_f32 v18, v20, v19, v18 op_sel_hi:[0,1,0]
.LBB27_21:                              ;   in Loop: Header=BB27_15 Depth=1
	buffer_load_dword v20, off, s[96:99], 0 ; 4-byte Folded Reload
	v_add_co_u32 v19, vcc_lo, v222, s9
	v_mov_b32_e32 v125, 0
	v_mov_b32_e32 v126, 0
	;; [unrolled: 1-line block ×32, first 2 shown]
	s_waitcnt vmcnt(0)
	v_add_co_ci_u32_e64 v20, null, 0, v20, vcc_lo
	s_clause 0x8
	global_load_dword v23, v[19:20], off offset:2
	global_load_dword v24, v[19:20], off offset:10
	global_load_dword v25, v[19:20], off offset:20
	global_load_dword v107, v[19:20], off offset:28
	global_load_dword v108, v[19:20], off offset:38
	global_load_dword v109, v[19:20], off offset:46
	global_load_dword v110, v[19:20], off offset:56
	global_load_dword v111, v[19:20], off offset:64
	global_load_dword v112, v[19:20], off offset:74
	s_clause 0x1
	buffer_load_dword v21, off, s[96:99], 0 offset:4
	buffer_load_dword v22, off, s[96:99], 0 offset:8
	s_waitcnt vmcnt(10)
	v_and_b32_e32 v157, 0xf0f0f0f, v23
	s_waitcnt vmcnt(9)
	v_and_b32_e32 v158, 0xf0f0f0f, v24
	v_lshrrev_b32_e32 v23, 4, v23
	v_lshrrev_b32_e32 v24, 4, v24
	s_waitcnt vmcnt(8)
	v_and_b32_e32 v159, 0xf0f0f0f, v25
	v_lshrrev_b32_e32 v25, 4, v25
	s_waitcnt vmcnt(7)
	v_and_b32_e32 v160, 0xf0f0f0f, v107
	v_and_b32_e32 v23, 0xf0f0f0f, v23
	;; [unrolled: 1-line block ×3, first 2 shown]
	s_waitcnt vmcnt(1)
	v_add_co_u32 v21, vcc_lo, v21, s9
	s_waitcnt vmcnt(0)
	v_add_co_ci_u32_e64 v22, null, 0, v22, vcc_lo
	v_lshrrev_b32_e32 v107, 4, v107
	global_load_dword v113, v[19:20], off offset:82
	s_clause 0x1
	global_load_ushort v114, v[21:22], off
	global_load_ushort v115, v[21:22], off offset:18
	s_clause 0x1
	global_load_dword v116, v[19:20], off offset:92
	global_load_dword v117, v[19:20], off offset:100
	s_clause 0x1
	global_load_ushort v118, v[21:22], off offset:36
	global_load_ushort v119, v[21:22], off offset:54
	s_clause 0x1
	global_load_dword v120, v[19:20], off offset:110
	global_load_dword v121, v[19:20], off offset:118
	s_clause 0x1
	global_load_ushort v122, v[21:22], off offset:72
	;; [unrolled: 6-line block ×3, first 2 shown]
	global_load_ushort v21, v[21:22], off offset:126
	s_clause 0x1
	buffer_load_dword v165, off, s[96:99], 0 offset:12
	buffer_load_dword v166, off, s[96:99], 0 offset:16
	v_mov_b32_e32 v22, 0
	v_and_b32_e32 v107, 0xf0f0f0f, v107
	v_and_b32_e32 v161, 0xf0f0f0f, v108
	;; [unrolled: 1-line block ×3, first 2 shown]
	v_lshrrev_b32_e32 v108, 4, v108
	v_and_b32_e32 v164, 0xf0f0f0f, v111
	v_lshrrev_b32_e32 v109, 4, v109
	v_and_b32_e32 v163, 0xf0f0f0f, v110
	v_lshrrev_b32_e32 v110, 4, v110
	v_lshrrev_b32_e32 v111, 4, v111
	v_and_b32_e32 v109, 0xf0f0f0f, v109
	v_and_b32_e32 v111, 0xf0f0f0f, v111
	s_waitcnt vmcnt(1)
	v_dot4c_i32_i8 v22, v157, v165
	s_waitcnt vmcnt(0)
	v_dot4c_i32_i8 v125, v158, v166
	s_clause 0x1
	buffer_load_dword v165, off, s[96:99], 0 offset:20
	buffer_load_dword v166, off, s[96:99], 0 offset:24
	v_and_b32_e32 v157, 0xf0f0f0f, v112
	v_lshrrev_b32_e32 v112, 4, v112
	v_cvt_f32_i32_e32 v22, v22
	v_cvt_f32_i32_e32 v125, v125
	v_fma_f32 v22, v2, v22, -v3
	v_fma_mix_f32 v22, v22, v114, 0 op_sel_hi:[0,1,0]
	s_waitcnt vmcnt(1)
	v_dot4c_i32_i8 v126, v23, v165
	s_waitcnt vmcnt(0)
	v_dot4c_i32_i8 v127, v24, v166
	s_clause 0x1
	buffer_load_dword v165, off, s[96:99], 0 offset:28
	buffer_load_dword v166, off, s[96:99], 0 offset:32
	v_fma_f32 v24, v2, v125, -v3
	v_and_b32_e32 v23, 0xf0f0f0f, v113
	v_cvt_f32_i32_e32 v125, v126
	v_cvt_f32_i32_e32 v126, v127
	v_fma_mix_f32 v22, v24, v114, v22 op_sel_hi:[0,1,0]
	v_and_b32_e32 v24, 0xf0f0f0f, v25
	v_fma_f32 v125, v2, v125, -v3
	v_fma_f32 v126, v2, v126, -v3
	v_fma_mix_f32 v22, v125, v114, v22 op_sel_hi:[0,1,0]
	v_fma_mix_f32 v22, v126, v114, v22 op_sel_hi:[0,1,0]
	s_waitcnt vmcnt(1)
	v_dot4c_i32_i8 v128, v159, v165
	s_waitcnt vmcnt(0)
	v_dot4c_i32_i8 v129, v160, v166
	v_cvt_f32_i32_e32 v25, v128
	s_clause 0x1
	buffer_load_dword v127, off, s[96:99], 0 offset:36
	buffer_load_dword v128, off, s[96:99], 0 offset:40
	v_cvt_f32_i32_e32 v125, v129
	s_waitcnt vmcnt(1)
	v_dot4c_i32_i8 v130, v24, v127
	s_waitcnt vmcnt(0)
	v_dot4c_i32_i8 v131, v107, v128
	v_fma_f32 v107, v4, v125, -v5
	s_clause 0x1
	buffer_load_dword v125, off, s[96:99], 0 offset:44
	buffer_load_dword v126, off, s[96:99], 0 offset:48
	v_fma_f32 v24, v4, v25, -v5
	v_lshrrev_b32_e32 v25, 4, v113
	v_cvt_f32_i32_e32 v113, v130
	v_cvt_f32_i32_e32 v114, v131
	v_fma_mix_f32 v22, v24, v115, v22 op_sel_hi:[0,1,0]
	v_and_b32_e32 v24, 0xf0f0f0f, v116
	v_fma_f32 v113, v4, v113, -v5
	v_fma_f32 v114, v4, v114, -v5
	v_and_b32_e32 v25, 0xf0f0f0f, v25
	v_fma_mix_f32 v22, v107, v115, v22 op_sel_hi:[0,1,0]
	v_and_b32_e32 v107, 0xf0f0f0f, v108
	v_fma_mix_f32 v22, v113, v115, v22 op_sel_hi:[0,1,0]
	v_fma_mix_f32 v22, v114, v115, v22 op_sel_hi:[0,1,0]
	s_waitcnt vmcnt(1)
	v_dot4c_i32_i8 v132, v161, v125
	s_waitcnt vmcnt(0)
	v_dot4c_i32_i8 v134, v162, v126
	s_clause 0x3
	buffer_load_dword v125, off, s[96:99], 0 offset:52
	buffer_load_dword v126, off, s[96:99], 0 offset:56
	;; [unrolled: 1-line block ×4, first 2 shown]
	v_cvt_f32_i32_e32 v108, v132
	v_cvt_f32_i32_e32 v113, v134
	s_waitcnt vmcnt(3)
	v_dot4c_i32_i8 v135, v107, v125
	v_fma_f32 v107, v6, v108, -v7
	s_waitcnt vmcnt(0)
	v_dot4c_i32_i8 v138, v164, v115
	v_dot4c_i32_i8 v136, v109, v126
	v_fma_f32 v109, v6, v113, -v7
	v_cvt_f32_i32_e32 v113, v135
	v_fma_mix_f32 v22, v107, v118, v22 op_sel_hi:[0,1,0]
	v_lshrrev_b32_e32 v107, 4, v116
	s_clause 0x1
	buffer_load_dword v115, off, s[96:99], 0 offset:68
	buffer_load_dword v116, off, s[96:99], 0 offset:72
	v_dot4c_i32_i8 v137, v163, v114
	v_cvt_f32_i32_e32 v114, v136
	v_fma_f32 v113, v6, v113, -v7
	v_fma_mix_f32 v22, v109, v118, v22 op_sel_hi:[0,1,0]
	v_and_b32_e32 v109, 0xf0f0f0f, v110
	v_cvt_f32_i32_e32 v110, v137
	v_fma_f32 v114, v6, v114, -v7
	v_and_b32_e32 v108, 0xf0f0f0f, v117
	v_fma_mix_f32 v22, v113, v118, v22 op_sel_hi:[0,1,0]
	v_cvt_f32_i32_e32 v113, v138
	v_fma_mix_f32 v22, v114, v118, v22 op_sel_hi:[0,1,0]
	s_waitcnt vmcnt(1)
	v_dot4c_i32_i8 v139, v109, v115
	s_clause 0x1
	buffer_load_dword v114, off, s[96:99], 0 offset:76
	buffer_load_dword v115, off, s[96:99], 0 offset:80
	s_waitcnt vmcnt(2)
	v_dot4c_i32_i8 v140, v111, v116
	v_fma_f32 v109, v8, v110, -v9
	v_fma_f32 v111, v8, v113, -v9
	v_cvt_f32_i32_e32 v113, v139
	v_lshrrev_b32_e32 v110, 4, v117
	v_fma_mix_f32 v22, v109, v119, v22 op_sel_hi:[0,1,0]
	v_and_b32_e32 v109, 0xf0f0f0f, v120
	v_fma_f32 v113, v8, v113, -v9
	v_fma_mix_f32 v22, v111, v119, v22 op_sel_hi:[0,1,0]
	v_fma_mix_f32 v22, v113, v119, v22 op_sel_hi:[0,1,0]
	s_waitcnt vmcnt(1)
	v_dot4c_i32_i8 v141, v157, v114
	v_cvt_f32_i32_e32 v114, v140
	s_waitcnt vmcnt(0)
	v_dot4c_i32_i8 v142, v23, v115
	v_and_b32_e32 v23, 0xf0f0f0f, v112
	v_cvt_f32_i32_e32 v111, v141
	v_fma_f32 v112, v8, v114, -v9
	s_clause 0x1
	buffer_load_dword v114, off, s[96:99], 0 offset:84
	buffer_load_dword v115, off, s[96:99], 0 offset:88
	v_cvt_f32_i32_e32 v113, v142
	v_fma_mix_f32 v22, v112, v119, v22 op_sel_hi:[0,1,0]
	s_waitcnt vmcnt(1)
	v_dot4c_i32_i8 v143, v23, v114
	s_waitcnt vmcnt(0)
	v_dot4c_i32_i8 v144, v25, v115
	v_fma_f32 v25, v10, v113, -v11
	s_clause 0x1
	buffer_load_dword v113, off, s[96:99], 0 offset:92
	buffer_load_dword v114, off, s[96:99], 0 offset:96
	v_fma_f32 v23, v10, v111, -v11
	v_cvt_f32_i32_e32 v112, v143
	v_and_b32_e32 v111, 0xf0f0f0f, v121
	v_fma_mix_f32 v22, v23, v122, v22 op_sel_hi:[0,1,0]
	v_fma_f32 v112, v10, v112, -v11
	v_lshrrev_b32_e32 v23, 4, v120
	v_fma_mix_f32 v22, v25, v122, v22 op_sel_hi:[0,1,0]
	v_and_b32_e32 v25, 0xf0f0f0f, v107
	v_and_b32_e32 v23, 0xf0f0f0f, v23
	v_fma_mix_f32 v22, v112, v122, v22 op_sel_hi:[0,1,0]
	s_waitcnt vmcnt(1)
	v_dot4c_i32_i8 v145, v24, v113
	s_clause 0x1
	buffer_load_dword v112, off, s[96:99], 0 offset:100
	buffer_load_dword v113, off, s[96:99], 0 offset:104
	s_waitcnt vmcnt(2)
	v_dot4c_i32_i8 v146, v108, v114
	v_and_b32_e32 v108, 0xf0f0f0f, v110
	v_cvt_f32_i32_e32 v24, v144
	v_cvt_f32_i32_e32 v107, v145
	;; [unrolled: 1-line block ×3, first 2 shown]
	v_fma_f32 v24, v10, v24, -v11
	v_fma_mix_f32 v22, v24, v122, v22 op_sel_hi:[0,1,0]
	v_lshrrev_b32_e32 v24, 4, v121
	v_and_b32_e32 v24, 0xf0f0f0f, v24
	s_waitcnt vmcnt(1)
	v_dot4c_i32_i8 v147, v25, v112
	s_waitcnt vmcnt(0)
	v_dot4c_i32_i8 v148, v108, v113
	s_clause 0x1
	buffer_load_dword v112, off, s[96:99], 0 offset:108
	buffer_load_dword v113, off, s[96:99], 0 offset:112
	v_fma_f32 v25, v12, v107, -v13
	v_fma_f32 v107, v12, v110, -v13
	v_cvt_f32_i32_e32 v108, v147
	v_fma_mix_f32 v22, v25, v123, v22 op_sel_hi:[0,1,0]
	v_and_b32_e32 v25, 0xf0f0f0f, v124
	v_fma_f32 v108, v12, v108, -v13
	v_fma_mix_f32 v22, v107, v123, v22 op_sel_hi:[0,1,0]
	v_fma_mix_f32 v22, v108, v123, v22 op_sel_hi:[0,1,0]
	s_waitcnt vmcnt(1)
	v_dot4c_i32_i8 v149, v109, v112
	s_waitcnt vmcnt(0)
	v_dot4c_i32_i8 v150, v111, v113
	s_clause 0x1
	buffer_load_dword v110, off, s[96:99], 0 offset:116
	buffer_load_dword v111, off, s[96:99], 0 offset:120
	v_cvt_f32_i32_e32 v109, v148
	v_cvt_f32_i32_e32 v107, v149
	;; [unrolled: 1-line block ×3, first 2 shown]
	v_fma_f32 v109, v12, v109, -v13
	v_fma_mix_f32 v22, v109, v123, v22 op_sel_hi:[0,1,0]
	s_waitcnt vmcnt(1)
	v_dot4c_i32_i8 v151, v23, v110
	s_clause 0x1
	buffer_load_dword v109, off, s[96:99], 0 offset:124
	buffer_load_dword v110, off, s[96:99], 0 offset:128
	v_fma_f32 v23, v14, v107, -v15
	s_waitcnt vmcnt(2)
	v_dot4c_i32_i8 v152, v24, v111
	v_fma_f32 v24, v14, v108, -v15
	v_cvt_f32_i32_e32 v108, v151
	v_and_b32_e32 v107, 0xf0f0f0f, v19
	v_fma_mix_f32 v22, v23, v20, v22 op_sel_hi:[0,1,0]
	v_lshrrev_b32_e32 v23, 4, v124
	v_lshrrev_b32_e32 v19, 4, v19
	v_fma_f32 v108, v14, v108, -v15
	v_fma_mix_f32 v22, v24, v20, v22 op_sel_hi:[0,1,0]
	v_and_b32_e32 v23, 0xf0f0f0f, v23
	v_and_b32_e32 v19, 0xf0f0f0f, v19
	v_fma_mix_f32 v22, v108, v20, v22 op_sel_hi:[0,1,0]
	s_waitcnt vmcnt(1)
	v_dot4c_i32_i8 v153, v25, v109
	s_clause 0x1
	buffer_load_dword v108, off, s[96:99], 0 offset:132
	buffer_load_dword v109, off, s[96:99], 0 offset:136
	v_cvt_f32_i32_e32 v25, v152
	s_waitcnt vmcnt(2)
	v_dot4c_i32_i8 v154, v107, v110
	v_cvt_f32_i32_e32 v24, v153
	v_fma_f32 v25, v14, v25, -v15
	v_cvt_f32_i32_e32 v107, v154
	v_fma_f32 v24, v16, v24, -v17
	v_fma_mix_f32 v20, v25, v20, v22 op_sel_hi:[0,1,0]
	v_fma_mix_f32 v20, v24, v21, v20 op_sel_hi:[0,1,0]
	s_waitcnt vmcnt(1)
	v_dot4c_i32_i8 v155, v23, v108
	s_waitcnt vmcnt(0)
	v_dot4c_i32_i8 v156, v19, v109
	v_fma_f32 v19, v16, v107, -v17
	v_cvt_f32_i32_e32 v22, v155
	v_cvt_f32_i32_e32 v23, v156
	v_fma_mix_f32 v19, v19, v21, v20 op_sel_hi:[0,1,0]
	v_fma_f32 v20, v16, v22, -v17
	v_fma_f32 v22, v16, v23, -v17
	v_fma_mix_f32 v19, v20, v21, v19 op_sel_hi:[0,1,0]
	buffer_load_dword v20, off, s[96:99], 0 offset:144 ; 4-byte Folded Reload
	v_fma_mix_f32 v19, v22, v21, v19 op_sel_hi:[0,1,0]
	s_waitcnt vmcnt(0)
	ds_bpermute_b32 v20, v20, v19
	s_waitcnt lgkmcnt(0)
	v_add_f32_e32 v19, v19, v20
                                        ; implicit-def: $vgpr20
	v_cmp_ngt_f32_e64 s13, 0x3f200000, |v19|
	s_and_saveexec_b32 s14, s13
	s_xor_b32 s13, exec_lo, s14
	s_cbranch_execz .LBB27_23
; %bb.22:                               ;   in Loop: Header=BB27_15 Depth=1
	v_add_f32_e64 v20, |v19|, |v19|
	v_mul_f32_e32 v21, 0x3fb8aa3b, v20
	v_cmp_ngt_f32_e32 vcc_lo, 0xc2ce8ed0, v20
	v_rndne_f32_e32 v22, v21
	v_fma_f32 v23, 0x3fb8aa3b, v20, -v21
	v_sub_f32_e32 v21, v21, v22
	v_fmac_f32_e32 v23, 0x32a5705f, v20
	v_cvt_i32_f32_e32 v22, v22
	v_add_f32_e32 v21, v21, v23
	v_exp_f32_e32 v21, v21
	v_ldexp_f32 v21, v21, v22
	v_cndmask_b32_e32 v21, 0, v21, vcc_lo
	v_cmp_nlt_f32_e32 vcc_lo, 0x42b17218, v20
	v_cndmask_b32_e32 v20, 0x7f800000, v21, vcc_lo
	v_add_f32_e32 v20, 1.0, v20
	v_rcp_f32_e32 v20, v20
	v_fma_f32 v20, v20, -2.0, 1.0
.LBB27_23:                              ;   in Loop: Header=BB27_15 Depth=1
	s_or_saveexec_b32 s13, s13
	v_mov_b32_e32 v15, v188
	v_mov_b32_e32 v16, v189
	;; [unrolled: 1-line block ×3, first 2 shown]
	s_xor_b32 exec_lo, exec_lo, s13
	s_cbranch_execz .LBB27_25
; %bb.24:                               ;   in Loop: Header=BB27_15 Depth=1
	v_mul_f32_e32 v20, v19, v19
	v_fmaak_f32 v21, s12, v20, 0x3ca908c9
	v_fmaak_f32 v21, v20, v21, 0xbd5c1c4e
	;; [unrolled: 1-line block ×4, first 2 shown]
	v_mul_f32_e64 v21, |v19|, v21
	v_fma_f32 v20, v20, v21, |v19|
.LBB27_25:                              ;   in Loop: Header=BB27_15 Depth=1
	s_or_b32 exec_lo, exec_lo, s13
	v_bfi_b32 v19, 0x7fffffff, v20, v19
	s_andn2_b32 vcc_lo, exec_lo, s77
	buffer_store_dword v167, off, s[96:99], 0 offset:588 ; 4-byte Folded Spill
	buffer_store_dword v58, off, s[96:99], 0 offset:596 ; 4-byte Folded Spill
	;; [unrolled: 1-line block ×3, first 2 shown]
	v_mul_f32_e32 v19, s87, v19
	s_cbranch_vccnz .LBB27_27
; %bb.26:                               ;   in Loop: Header=BB27_15 Depth=1
	global_load_ushort v20, v[58:59], off
	buffer_load_dword v21, off, s[96:99], 0 offset:604 ; 4-byte Folded Reload
	s_waitcnt vmcnt(0)
	v_fma_mix_f32 v19, v21, v20, v19 op_sel_hi:[0,1,0]
.LBB27_27:                              ;   in Loop: Header=BB27_15 Depth=1
	v_add_f32_e32 v20, 0x40051340, v18
	v_add_f32_e32 v21, 0x40051340, v19
	v_cndmask_b32_e64 v18, v19, v18, s1
	v_mov_b32_e32 v222, v220
	v_mov_b32_e32 v221, v219
	buffer_load_dword v19, off, s[96:99], 0 offset:624 ; 4-byte Folded Reload
	v_max3_f32 v20, v54, v20, v21
	buffer_load_dword v21, off, s[96:99], 0 offset:612 ; 4-byte Folded Reload
	v_mov_b32_e32 v158, v223
	v_mov_b32_e32 v107, v48
	;; [unrolled: 1-line block ×3, first 2 shown]
	s_add_i32 s70, s70, s88
	buffer_load_dword v121, off, s[96:99], 0 offset:628 ; 4-byte Folded Reload
	s_cmp_ge_i32 s70, s84
	s_waitcnt vmcnt(1)
	ds_bpermute_b32 v21, v21, v20
	s_waitcnt lgkmcnt(0)
	v_max_f32_e32 v21, v21, v21
	v_max_f32_e32 v20, v20, v21
	buffer_load_dword v21, off, s[96:99], 0 offset:616 ; 4-byte Folded Reload
	s_waitcnt vmcnt(0)
	ds_bpermute_b32 v21, v21, v20
	s_waitcnt lgkmcnt(0)
	v_max_f32_e32 v21, v21, v21
	v_max_f32_e32 v20, v20, v21
	buffer_load_dword v21, off, s[96:99], 0 offset:620 ; 4-byte Folded Reload
	s_waitcnt vmcnt(0)
	ds_bpermute_b32 v21, v21, v20
	s_waitcnt lgkmcnt(0)
	v_max_f32_e32 v21, v21, v21
	v_max_f32_e32 v20, v20, v21
	ds_bpermute_b32 v19, v19, v20
	s_waitcnt lgkmcnt(0)
	v_max_f32_e32 v19, v19, v19
	v_max_f32_e32 v58, v20, v19
	v_sub_f32_e32 v18, v18, v58
	v_mul_f32_e32 v19, 0x3fb8aa3b, v18
	v_cmp_ngt_f32_e32 vcc_lo, 0xc2ce8ed0, v18
	v_fma_f32 v20, 0x3fb8aa3b, v18, -v19
	v_rndne_f32_e32 v21, v19
	v_fmac_f32_e32 v20, 0x32a5705f, v18
	v_sub_f32_e32 v19, v19, v21
	v_add_f32_e32 v19, v19, v20
	v_cvt_i32_f32_e32 v20, v21
	v_exp_f32_e32 v19, v19
	v_ldexp_f32 v19, v19, v20
	v_cndmask_b32_e32 v19, 0, v19, vcc_lo
	v_cmp_nlt_f32_e32 vcc_lo, 0x42b17218, v18
	v_cndmask_b32_e32 v108, 0x7f800000, v19, vcc_lo
	buffer_load_dword v19, off, s[96:99], 0 offset:608 ; 4-byte Folded Reload
	v_add_co_u32 v135, vcc_lo, v170, s8
	v_add_co_ci_u32_e64 v136, null, 0, v171, vcc_lo
	v_cvt_f16_f32_e32 v18, v108
	s_waitcnt vmcnt(0)
	ds_write_b16 v19, v18
	ds_read_b128 v[22:25], v121
	ds_read_b128 v[18:21], v121 offset:16
	s_waitcnt lgkmcnt(1)
	v_mul_u32_u24_sdwa v130, v22, v106 dst_sel:DWORD dst_unused:UNUSED_PAD src0_sel:WORD_0 src1_sel:DWORD
	v_mul_u32_u24_sdwa v128, v22, v106 dst_sel:DWORD dst_unused:UNUSED_PAD src0_sel:WORD_1 src1_sel:DWORD
	v_mul_u32_u24_sdwa v126, v23, v106 dst_sel:DWORD dst_unused:UNUSED_PAD src0_sel:WORD_0 src1_sel:DWORD
	v_mul_u32_u24_sdwa v124, v23, v106 dst_sel:DWORD dst_unused:UNUSED_PAD src0_sel:WORD_1 src1_sel:DWORD
	v_mul_u32_u24_sdwa v120, v24, v106 dst_sel:DWORD dst_unused:UNUSED_PAD src0_sel:WORD_0 src1_sel:DWORD
	v_mul_u32_u24_sdwa v119, v24, v106 dst_sel:DWORD dst_unused:UNUSED_PAD src0_sel:WORD_1 src1_sel:DWORD
	v_mul_u32_u24_sdwa v116, v25, v106 dst_sel:DWORD dst_unused:UNUSED_PAD src0_sel:WORD_0 src1_sel:DWORD
	v_mul_u32_u24_sdwa v109, v25, v106 dst_sel:DWORD dst_unused:UNUSED_PAD src0_sel:WORD_1 src1_sel:DWORD
	s_waitcnt lgkmcnt(0)
	v_mul_u32_u24_sdwa v110, v18, v106 dst_sel:DWORD dst_unused:UNUSED_PAD src0_sel:WORD_0 src1_sel:DWORD
	v_mul_u32_u24_sdwa v111, v18, v106 dst_sel:DWORD dst_unused:UNUSED_PAD src0_sel:WORD_1 src1_sel:DWORD
	v_mul_u32_u24_sdwa v112, v19, v106 dst_sel:DWORD dst_unused:UNUSED_PAD src0_sel:WORD_0 src1_sel:DWORD
	v_mul_u32_u24_sdwa v113, v19, v106 dst_sel:DWORD dst_unused:UNUSED_PAD src0_sel:WORD_1 src1_sel:DWORD
	;; [unrolled: 2-line block ×4, first 2 shown]
	ds_read_b128 v[18:21], v121 offset:32
	ds_read_b128 v[22:25], v121 offset:48
	s_clause 0x7
	buffer_load_dword v3, off, s[96:99], 0 offset:524
	buffer_load_dword v161, off, s[96:99], 0 offset:160
	;; [unrolled: 1-line block ×8, first 2 shown]
	buffer_store_dword v216, off, s[96:99], 0 offset:584 ; 4-byte Folded Spill
	buffer_store_dword v214, off, s[96:99], 0 offset:576 ; 4-byte Folded Spill
	;; [unrolled: 1-line block ×10, first 2 shown]
	s_waitcnt lgkmcnt(1)
	v_mul_u32_u24_sdwa v134, v18, v106 dst_sel:DWORD dst_unused:UNUSED_PAD src0_sel:WORD_0 src1_sel:DWORD
	v_mul_u32_u24_sdwa v132, v18, v106 dst_sel:DWORD dst_unused:UNUSED_PAD src0_sel:WORD_1 src1_sel:DWORD
	v_mul_u32_u24_sdwa v122, v21, v106 dst_sel:DWORD dst_unused:UNUSED_PAD src0_sel:WORD_0 src1_sel:DWORD
	v_mul_u32_u24_sdwa v18, v21, v106 dst_sel:DWORD dst_unused:UNUSED_PAD src0_sel:WORD_1 src1_sel:DWORD
	s_waitcnt lgkmcnt(0)
	v_mul_u32_u24_sdwa v123, v25, v106 dst_sel:DWORD dst_unused:UNUSED_PAD src0_sel:WORD_0 src1_sel:DWORD
	v_mul_u32_u24_sdwa v21, v25, v106 dst_sel:DWORD dst_unused:UNUSED_PAD src0_sel:WORD_1 src1_sel:DWORD
	global_load_dword v25, v[135:136], off
	v_add_co_u32 v135, vcc_lo, v174, s8
	v_add_co_ci_u32_e64 v136, null, 0, v175, vcc_lo
	buffer_store_dword v199, off, s[96:99], 0 offset:544 ; 4-byte Folded Spill
	buffer_store_dword v202, off, s[96:99], 0 offset:548 ; 4-byte Folded Spill
	v_mul_u32_u24_sdwa v131, v19, v106 dst_sel:DWORD dst_unused:UNUSED_PAD src0_sel:WORD_0 src1_sel:DWORD
	global_load_dword v137, v[135:136], off
	v_add_co_u32 v135, vcc_lo, v168, s8
	v_add_co_ci_u32_e64 v136, null, 0, v169, vcc_lo
	v_mul_u32_u24_sdwa v129, v19, v106 dst_sel:DWORD dst_unused:UNUSED_PAD src0_sel:WORD_1 src1_sel:DWORD
	s_clause 0x6
	buffer_load_dword v223, off, s[96:99], 0 offset:360
	buffer_load_dword v156, off, s[96:99], 0 offset:364
	;; [unrolled: 1-line block ×7, first 2 shown]
	global_load_ushort v138, v[135:136], off
	v_add_co_u32 v135, vcc_lo, v172, s8
	v_add_co_ci_u32_e64 v136, null, 0, v173, vcc_lo
	buffer_load_dword v59, off, s[96:99], 0 offset:532 ; 4-byte Folded Reload
	v_mul_u32_u24_sdwa v127, v20, v106 dst_sel:DWORD dst_unused:UNUSED_PAD src0_sel:WORD_0 src1_sel:DWORD
	s_clause 0x2
	buffer_load_dword v152, off, s[96:99], 0 offset:332
	buffer_load_dword v150, off, s[96:99], 0 offset:316
	;; [unrolled: 1-line block ×3, first 2 shown]
	global_load_ushort v135, v[135:136], off
	v_sub_f32_e32 v136, v54, v58
	v_mul_u32_u24_sdwa v125, v20, v106 dst_sel:DWORD dst_unused:UNUSED_PAD src0_sel:WORD_1 src1_sel:DWORD
	buffer_store_dword v58, off, s[96:99], 0 offset:592 ; 4-byte Folded Spill
	v_mov_b32_e32 v54, v1
	s_clause 0x7
	buffer_load_dword v14, off, s[96:99], 0 offset:224
	buffer_load_dword v11, off, s[96:99], 0 offset:228
	;; [unrolled: 1-line block ×8, first 2 shown]
	v_mul_f32_e32 v139, 0x3fb8aa3b, v136
	v_cmp_ngt_f32_e32 vcc_lo, 0xc2ce8ed0, v136
	v_mul_u32_u24_sdwa v19, v22, v106 dst_sel:DWORD dst_unused:UNUSED_PAD src0_sel:WORD_0 src1_sel:DWORD
	s_clause 0x4
	buffer_load_dword v6, off, s[96:99], 0 offset:192
	buffer_load_dword v8, off, s[96:99], 0 offset:200
	;; [unrolled: 1-line block ×5, first 2 shown]
	v_fma_f32 v140, 0x3fb8aa3b, v136, -v139
	v_rndne_f32_e32 v141, v139
	v_mul_u32_u24_sdwa v20, v22, v106 dst_sel:DWORD dst_unused:UNUSED_PAD src0_sel:WORD_1 src1_sel:DWORD
	v_mul_u32_u24_sdwa v22, v23, v106 dst_sel:DWORD dst_unused:UNUSED_PAD src0_sel:WORD_0 src1_sel:DWORD
	v_mul_u32_u24_sdwa v23, v23, v106 dst_sel:DWORD dst_unused:UNUSED_PAD src0_sel:WORD_1 src1_sel:DWORD
	v_fmac_f32_e32 v140, 0x32a5705f, v136
	v_sub_f32_e32 v139, v139, v141
	v_mul_u32_u24_sdwa v121, v24, v106 dst_sel:DWORD dst_unused:UNUSED_PAD src0_sel:WORD_0 src1_sel:DWORD
	v_mul_u32_u24_sdwa v24, v24, v106 dst_sel:DWORD dst_unused:UNUSED_PAD src0_sel:WORD_1 src1_sel:DWORD
	s_clause 0x2
	buffer_load_dword v148, off, s[96:99], 0 offset:300
	buffer_load_dword v146, off, s[96:99], 0 offset:284
	;; [unrolled: 1-line block ×3, first 2 shown]
	v_add_f32_e32 v139, v139, v140
	v_cvt_i32_f32_e32 v140, v141
	s_clause 0x1
	buffer_load_dword v144, off, s[96:99], 0 offset:268
	buffer_load_dword v58, off, s[96:99], 0 offset:260
	v_exp_f32_e32 v139, v139
	v_ldexp_f32 v139, v139, v140
	v_cndmask_b32_e32 v139, 0, v139, vcc_lo
	v_cmp_nlt_f32_e32 vcc_lo, 0x42b17218, v136
	v_cndmask_b32_e32 v136, 0x7f800000, v139, vcc_lo
	buffer_load_dword v139, off, s[96:99], 0 offset:140 ; 4-byte Folded Reload
	s_waitcnt vmcnt(33)
	v_ashrrev_i32_e32 v25, v105, v25
	v_and_b32_e32 v25, 0xf0f0f0f, v25
	s_waitcnt vmcnt(32)
	v_ashrrev_i32_e32 v137, v105, v137
	v_lshlrev_b16 v141, 8, v25
	v_and_b32_e32 v142, 0xf00, v25
	v_lshrrev_b32_e32 v25, 16, v25
	v_and_b32_e32 v137, 0xf0f0f0f, v137
	v_add_nc_u16 v141, 0xf800, v141
	v_and_b32_e32 v143, 0xf00, v137
	v_or_b32_sdwa v141, v142, v141 dst_sel:DWORD dst_unused:UNUSED_PAD src0_sel:DWORD src1_sel:BYTE_1
	v_lshlrev_b16 v142, 8, v137
	v_lshrrev_b32_e32 v137, 16, v137
	s_waitcnt vmcnt(24)
	v_mul_u32_u24_e32 v138, 0x10001, v138
	v_add_nc_u16 v141, 0xf800, v141
	v_add_nc_u16 v142, 0xf800, v142
	v_or_b32_sdwa v142, v143, v142 dst_sel:DWORD dst_unused:UNUSED_PAD src0_sel:DWORD src1_sel:BYTE_1
	v_lshlrev_b16 v143, 8, v25
	v_and_b32_e32 v25, 0xf00, v25
	s_waitcnt vmcnt(19)
	v_mul_u32_u24_e32 v135, 0x10001, v135
	v_add_nc_u16 v142, 0xf800, v142
	v_add_nc_u16 v143, 0xf800, v143
	v_or_b32_sdwa v25, v25, v143 dst_sel:DWORD dst_unused:UNUSED_PAD src0_sel:DWORD src1_sel:BYTE_1
	v_lshlrev_b16 v143, 8, v137
	v_and_b32_e32 v137, 0xf00, v137
	v_add_nc_u16 v25, 0xf800, v25
	v_add_nc_u16 v143, 0xf800, v143
	v_or_b32_sdwa v137, v137, v143 dst_sel:DWORD dst_unused:UNUSED_PAD src0_sel:DWORD src1_sel:BYTE_1
	v_lshrrev_b32_e32 v143, 8, v141
	v_cvt_f16_i16_sdwa v141, sext(v141) dst_sel:DWORD dst_unused:UNUSED_PAD src0_sel:BYTE_0
	v_add_nc_u16 v137, 0xf800, v137
	v_cvt_f16_i16_sdwa v143, sext(v143) dst_sel:DWORD dst_unused:UNUSED_PAD src0_sel:BYTE_0
	v_pack_b32_f16 v141, v141, v143
	v_lshrrev_b32_e32 v143, 8, v142
	v_cvt_f16_i16_sdwa v142, sext(v142) dst_sel:DWORD dst_unused:UNUSED_PAD src0_sel:BYTE_0
	v_pk_mul_f16 v141, v141, v138
	v_cvt_f16_i16_sdwa v143, sext(v143) dst_sel:DWORD dst_unused:UNUSED_PAD src0_sel:BYTE_0
	v_pack_b32_f16 v142, v142, v143
	v_lshrrev_b32_e32 v143, 8, v25
	v_cvt_f16_i16_sdwa v25, sext(v25) dst_sel:DWORD dst_unused:UNUSED_PAD src0_sel:BYTE_0
	v_cvt_f16_i16_sdwa v143, sext(v143) dst_sel:DWORD dst_unused:UNUSED_PAD src0_sel:BYTE_0
	v_pack_b32_f16 v25, v25, v143
	v_lshrrev_b32_e32 v143, 8, v137
	v_cvt_f16_i16_sdwa v137, sext(v137) dst_sel:DWORD dst_unused:UNUSED_PAD src0_sel:BYTE_0
	s_waitcnt vmcnt(0)
	v_fma_f32 v139, v139, v136, v108
	v_cvt_f16_f32_e32 v108, v136
	v_cvt_f16_i16_sdwa v143, sext(v143) dst_sel:DWORD dst_unused:UNUSED_PAD src0_sel:BYTE_0
	v_pk_mul_f16 v25, v25, v138
	v_pk_mul_f16 v138, v142, v135
	buffer_store_dword v139, off, s[96:99], 0 offset:140 ; 4-byte Folded Spill
	v_mul_u32_u24_sdwa v108, v108, v106 dst_sel:DWORD dst_unused:UNUSED_PAD src0_sel:WORD_0 src1_sel:DWORD
	v_pack_b32_f16 v137, v137, v143
	buffer_load_dword v143, off, s[96:99], 0 offset:384 ; 4-byte Folded Reload
	buffer_store_dword v57, off, s[96:99], 0 offset:524 ; 4-byte Folded Spill
	v_pk_mul_f16 v136, v3, v108
	buffer_load_dword v3, off, s[96:99], 0 offset:536 ; 4-byte Folded Reload
	v_pk_mul_f16 v135, v137, v135
	buffer_store_dword v194, off, s[96:99], 0 offset:536 ; 4-byte Folded Spill
	v_pk_fma_f16 v137, v141, v130, v136
	s_waitcnt vmcnt(0)
	v_pk_mul_f16 v139, v3, v108
	buffer_load_dword v3, off, s[96:99], 0 offset:528 ; 4-byte Folded Reload
	buffer_store_dword v70, off, s[96:99], 0 offset:528 ; 4-byte Folded Spill
	v_pk_fma_f16 v25, v25, v130, v139
	s_waitcnt vmcnt(0)
	v_pk_mul_f16 v140, v3, v108
	v_pk_mul_f16 v108, v2, v108
	s_clause 0x2
	buffer_load_dword v3, off, s[96:99], 0 offset:196
	buffer_load_dword v2, off, s[96:99], 0 offset:180
	;; [unrolled: 1-line block ×3, first 2 shown]
	v_pk_fma_f16 v138, v138, v130, v140
	v_pk_fma_f16 v108, v135, v130, v108
	v_add_co_u32 v135, vcc_lo, v177, s8
	v_add_co_ci_u32_e64 v136, null, 0, v178, vcc_lo
	global_load_dword v130, v[135:136], off
	v_add_co_u32 v135, vcc_lo, v181, s8
	v_add_co_ci_u32_e64 v136, null, 0, v182, vcc_lo
	global_load_dword v139, v[135:136], off
	v_add_co_u32 v135, vcc_lo, v143, s8
	v_add_co_ci_u32_e64 v136, null, 0, v176, vcc_lo
	global_load_ushort v140, v[135:136], off
	v_add_co_u32 v135, vcc_lo, v179, s8
	v_add_co_ci_u32_e64 v136, null, 0, v180, vcc_lo
	global_load_ushort v135, v[135:136], off
	s_waitcnt vmcnt(3)
	v_ashrrev_i32_e32 v130, v105, v130
	v_and_b32_e32 v130, 0xf0f0f0f, v130
	s_waitcnt vmcnt(2)
	v_ashrrev_i32_e32 v139, v105, v139
	v_lshlrev_b16 v136, 8, v130
	v_and_b32_e32 v141, 0xf00, v130
	v_lshrrev_b32_e32 v130, 16, v130
	v_and_b32_e32 v139, 0xf0f0f0f, v139
	v_add_nc_u16 v136, 0xf800, v136
	s_waitcnt vmcnt(1)
	v_mul_u32_u24_e32 v140, 0x10001, v140
	v_and_b32_e32 v142, 0xf00, v139
	v_or_b32_sdwa v136, v141, v136 dst_sel:DWORD dst_unused:UNUSED_PAD src0_sel:DWORD src1_sel:BYTE_1
	v_lshlrev_b16 v141, 8, v139
	v_lshrrev_b32_e32 v139, 16, v139
	s_waitcnt vmcnt(0)
	v_mul_u32_u24_e32 v135, 0x10001, v135
	v_add_nc_u16 v136, 0xf800, v136
	v_add_nc_u16 v141, 0xf800, v141
	v_or_b32_sdwa v141, v142, v141 dst_sel:DWORD dst_unused:UNUSED_PAD src0_sel:DWORD src1_sel:BYTE_1
	v_lshlrev_b16 v142, 8, v130
	v_and_b32_e32 v130, 0xf00, v130
	v_add_nc_u16 v141, 0xf800, v141
	v_add_nc_u16 v142, 0xf800, v142
	v_or_b32_sdwa v130, v130, v142 dst_sel:DWORD dst_unused:UNUSED_PAD src0_sel:DWORD src1_sel:BYTE_1
	v_lshlrev_b16 v142, 8, v139
	v_and_b32_e32 v139, 0xf00, v139
	v_add_nc_u16 v130, 0xf800, v130
	v_add_nc_u16 v142, 0xf800, v142
	v_or_b32_sdwa v139, v139, v142 dst_sel:DWORD dst_unused:UNUSED_PAD src0_sel:DWORD src1_sel:BYTE_1
	v_lshrrev_b32_e32 v142, 8, v136
	v_cvt_f16_i16_sdwa v136, sext(v136) dst_sel:DWORD dst_unused:UNUSED_PAD src0_sel:BYTE_0
	v_add_nc_u16 v139, 0xf800, v139
	v_cvt_f16_i16_sdwa v142, sext(v142) dst_sel:DWORD dst_unused:UNUSED_PAD src0_sel:BYTE_0
	v_pack_b32_f16 v136, v136, v142
	v_lshrrev_b32_e32 v142, 8, v141
	v_cvt_f16_i16_sdwa v141, sext(v141) dst_sel:DWORD dst_unused:UNUSED_PAD src0_sel:BYTE_0
	v_pk_mul_f16 v136, v136, v140
	v_cvt_f16_i16_sdwa v142, sext(v142) dst_sel:DWORD dst_unused:UNUSED_PAD src0_sel:BYTE_0
	v_pk_fma_f16 v137, v136, v128, v137
	v_pack_b32_f16 v141, v141, v142
	v_lshrrev_b32_e32 v142, 8, v130
	v_cvt_f16_i16_sdwa v130, sext(v130) dst_sel:DWORD dst_unused:UNUSED_PAD src0_sel:BYTE_0
	v_cvt_f16_i16_sdwa v142, sext(v142) dst_sel:DWORD dst_unused:UNUSED_PAD src0_sel:BYTE_0
	v_pack_b32_f16 v130, v130, v142
	v_lshrrev_b32_e32 v142, 8, v139
	v_cvt_f16_i16_sdwa v139, sext(v139) dst_sel:DWORD dst_unused:UNUSED_PAD src0_sel:BYTE_0
	v_pk_mul_f16 v130, v130, v140
	v_cvt_f16_i16_sdwa v142, sext(v142) dst_sel:DWORD dst_unused:UNUSED_PAD src0_sel:BYTE_0
	v_pk_mul_f16 v140, v141, v135
	v_pk_fma_f16 v25, v130, v128, v25
	v_pack_b32_f16 v139, v139, v142
	buffer_load_dword v142, off, s[96:99], 0 offset:396 ; 4-byte Folded Reload
	v_pk_fma_f16 v138, v140, v128, v138
	v_pk_mul_f16 v135, v139, v135
	v_pk_fma_f16 v108, v135, v128, v108
	v_add_co_u32 v135, vcc_lo, v184, s8
	v_add_co_ci_u32_e64 v136, null, 0, v185, vcc_lo
	global_load_dword v128, v[135:136], off
	v_add_co_u32 v135, vcc_lo, v15, s8
	v_add_co_ci_u32_e64 v136, null, 0, v16, vcc_lo
	global_load_dword v130, v[135:136], off
	s_waitcnt vmcnt(2)
	v_add_co_u32 v135, vcc_lo, v142, s8
	v_add_co_ci_u32_e64 v136, null, 0, v183, vcc_lo
	global_load_ushort v139, v[135:136], off
	v_add_co_u32 v135, vcc_lo, v186, s8
	v_add_co_ci_u32_e64 v136, null, 0, v187, vcc_lo
	global_load_ushort v135, v[135:136], off
	s_waitcnt vmcnt(3)
	v_ashrrev_i32_e32 v128, v105, v128
	v_and_b32_e32 v128, 0xf0f0f0f, v128
	s_waitcnt vmcnt(2)
	v_ashrrev_i32_e32 v130, v105, v130
	v_lshlrev_b16 v136, 8, v128
	v_and_b32_e32 v140, 0xf00, v128
	v_lshrrev_b32_e32 v128, 16, v128
	v_and_b32_e32 v130, 0xf0f0f0f, v130
	v_add_nc_u16 v136, 0xf800, v136
	v_and_b32_e32 v141, 0xf00, v130
	v_or_b32_sdwa v136, v140, v136 dst_sel:DWORD dst_unused:UNUSED_PAD src0_sel:DWORD src1_sel:BYTE_1
	v_lshlrev_b16 v140, 8, v130
	v_lshrrev_b32_e32 v130, 16, v130
	v_add_nc_u16 v136, 0xf800, v136
	v_add_nc_u16 v140, 0xf800, v140
	v_or_b32_sdwa v140, v141, v140 dst_sel:DWORD dst_unused:UNUSED_PAD src0_sel:DWORD src1_sel:BYTE_1
	v_lshlrev_b16 v141, 8, v128
	v_and_b32_e32 v128, 0xf00, v128
	v_add_nc_u16 v140, 0xf800, v140
	v_add_nc_u16 v141, 0xf800, v141
	v_or_b32_sdwa v128, v128, v141 dst_sel:DWORD dst_unused:UNUSED_PAD src0_sel:DWORD src1_sel:BYTE_1
	v_lshlrev_b16 v141, 8, v130
	v_and_b32_e32 v130, 0xf00, v130
	v_add_nc_u16 v128, 0xf800, v128
	v_add_nc_u16 v141, 0xf800, v141
	v_or_b32_sdwa v130, v130, v141 dst_sel:DWORD dst_unused:UNUSED_PAD src0_sel:DWORD src1_sel:BYTE_1
	v_lshrrev_b32_e32 v141, 8, v136
	v_cvt_f16_i16_sdwa v136, sext(v136) dst_sel:DWORD dst_unused:UNUSED_PAD src0_sel:BYTE_0
	v_add_nc_u16 v130, 0xf800, v130
	v_cvt_f16_i16_sdwa v141, sext(v141) dst_sel:DWORD dst_unused:UNUSED_PAD src0_sel:BYTE_0
	v_pack_b32_f16 v136, v136, v141
	v_lshrrev_b32_e32 v141, 8, v140
	v_cvt_f16_i16_sdwa v140, sext(v140) dst_sel:DWORD dst_unused:UNUSED_PAD src0_sel:BYTE_0
	v_cvt_f16_i16_sdwa v141, sext(v141) dst_sel:DWORD dst_unused:UNUSED_PAD src0_sel:BYTE_0
	v_pack_b32_f16 v140, v140, v141
	v_lshrrev_b32_e32 v141, 8, v128
	v_cvt_f16_i16_sdwa v128, sext(v128) dst_sel:DWORD dst_unused:UNUSED_PAD src0_sel:BYTE_0
	;; [unrolled: 4-line block ×3, first 2 shown]
	v_cvt_f16_i16_sdwa v141, sext(v141) dst_sel:DWORD dst_unused:UNUSED_PAD src0_sel:BYTE_0
	v_pack_b32_f16 v130, v130, v141
	buffer_load_dword v141, off, s[96:99], 0 offset:520 ; 4-byte Folded Reload
	s_waitcnt vmcnt(2)
	v_mul_u32_u24_e32 v139, 0x10001, v139
	v_pk_mul_f16 v136, v136, v139
	v_pk_mul_f16 v128, v128, v139
	s_waitcnt vmcnt(1)
	v_mul_u32_u24_e32 v135, 0x10001, v135
	v_pk_fma_f16 v137, v136, v126, v137
	v_pk_fma_f16 v25, v128, v126, v25
	v_pk_mul_f16 v139, v140, v135
	v_pk_mul_f16 v130, v130, v135
	v_add_co_u32 v135, vcc_lo, v216, s8
	v_add_co_ci_u32_e64 v136, null, 0, v222, vcc_lo
	v_pk_fma_f16 v138, v139, v126, v138
	v_pk_fma_f16 v108, v130, v126, v108
	v_mov_b32_e32 v216, v215
	global_load_dword v126, v[135:136], off
	v_add_co_u32 v135, vcc_lo, v213, s8
	v_add_co_ci_u32_e64 v136, null, 0, v214, vcc_lo
	v_mov_b32_e32 v214, v212
	v_mov_b32_e32 v213, v211
	s_clause 0x3
	buffer_load_dword v215, off, s[96:99], 0 offset:328
	buffer_load_dword v211, off, s[96:99], 0 offset:312
	;; [unrolled: 1-line block ×4, first 2 shown]
	global_load_dword v128, v[135:136], off
	v_add_co_u32 v135, vcc_lo, v221, s8
	v_add_co_ci_u32_e64 v136, null, 0, v158, vcc_lo
	global_load_ushort v130, v[135:136], off
	v_add_co_u32 v135, vcc_lo, v218, s8
	v_add_co_ci_u32_e64 v136, null, 0, v216, vcc_lo
	v_mov_b32_e32 v218, v209
	buffer_load_dword v209, off, s[96:99], 0 offset:336 ; 4-byte Folded Reload
	global_load_ushort v135, v[135:136], off
	s_waitcnt vmcnt(8)
	v_ashrrev_i32_e32 v126, v105, v126
	v_and_b32_e32 v126, 0xf0f0f0f, v126
	v_lshlrev_b16 v136, 8, v126
	s_waitcnt vmcnt(3)
	v_ashrrev_i32_e32 v128, v105, v128
	v_and_b32_e32 v139, 0xf00, v126
	v_lshrrev_b32_e32 v126, 16, v126
	v_add_nc_u16 v136, 0xf800, v136
	v_and_b32_e32 v128, 0xf0f0f0f, v128
	s_waitcnt vmcnt(2)
	v_mul_u32_u24_e32 v130, 0x10001, v130
	v_or_b32_sdwa v136, v139, v136 dst_sel:DWORD dst_unused:UNUSED_PAD src0_sel:DWORD src1_sel:BYTE_1
	v_lshlrev_b16 v139, 8, v128
	v_and_b32_e32 v140, 0xf00, v128
	v_lshrrev_b32_e32 v128, 16, v128
	v_add_nc_u16 v136, 0xf800, v136
	v_add_nc_u16 v139, 0xf800, v139
	v_or_b32_sdwa v139, v140, v139 dst_sel:DWORD dst_unused:UNUSED_PAD src0_sel:DWORD src1_sel:BYTE_1
	v_lshlrev_b16 v140, 8, v126
	v_and_b32_e32 v126, 0xf00, v126
	v_add_nc_u16 v139, 0xf800, v139
	v_add_nc_u16 v140, 0xf800, v140
	v_or_b32_sdwa v126, v126, v140 dst_sel:DWORD dst_unused:UNUSED_PAD src0_sel:DWORD src1_sel:BYTE_1
	v_lshlrev_b16 v140, 8, v128
	v_and_b32_e32 v128, 0xf00, v128
	v_add_nc_u16 v126, 0xf800, v126
	v_add_nc_u16 v140, 0xf800, v140
	v_or_b32_sdwa v128, v128, v140 dst_sel:DWORD dst_unused:UNUSED_PAD src0_sel:DWORD src1_sel:BYTE_1
	v_lshrrev_b32_e32 v140, 8, v136
	v_cvt_f16_i16_sdwa v136, sext(v136) dst_sel:DWORD dst_unused:UNUSED_PAD src0_sel:BYTE_0
	v_add_nc_u16 v128, 0xf800, v128
	v_cvt_f16_i16_sdwa v140, sext(v140) dst_sel:DWORD dst_unused:UNUSED_PAD src0_sel:BYTE_0
	v_pack_b32_f16 v136, v136, v140
	v_lshrrev_b32_e32 v140, 8, v139
	v_cvt_f16_i16_sdwa v139, sext(v139) dst_sel:DWORD dst_unused:UNUSED_PAD src0_sel:BYTE_0
	v_pk_mul_f16 v136, v136, v130
	v_cvt_f16_i16_sdwa v140, sext(v140) dst_sel:DWORD dst_unused:UNUSED_PAD src0_sel:BYTE_0
	v_pack_b32_f16 v139, v139, v140
	v_lshrrev_b32_e32 v140, 8, v126
	v_cvt_f16_i16_sdwa v126, sext(v126) dst_sel:DWORD dst_unused:UNUSED_PAD src0_sel:BYTE_0
	v_cvt_f16_i16_sdwa v140, sext(v140) dst_sel:DWORD dst_unused:UNUSED_PAD src0_sel:BYTE_0
	v_pack_b32_f16 v126, v126, v140
	v_lshrrev_b32_e32 v140, 8, v128
	v_cvt_f16_i16_sdwa v128, sext(v128) dst_sel:DWORD dst_unused:UNUSED_PAD src0_sel:BYTE_0
	v_pk_mul_f16 v126, v126, v130
	v_cvt_f16_i16_sdwa v140, sext(v140) dst_sel:DWORD dst_unused:UNUSED_PAD src0_sel:BYTE_0
	s_waitcnt vmcnt(0)
	v_mul_u32_u24_e32 v130, 0x10001, v135
	v_pk_fma_f16 v25, v126, v124, v25
	v_pack_b32_f16 v128, v128, v140
	v_pk_mul_f16 v135, v139, v130
	s_clause 0x1
	buffer_load_dword v139, off, s[96:99], 0 offset:512
	buffer_load_dword v140, off, s[96:99], 0 offset:516
	v_pk_mul_f16 v128, v128, v130
	v_pk_fma_f16 v130, v136, v124, v137
	v_pk_fma_f16 v137, v135, v124, v138
	v_add_co_u32 v135, vcc_lo, v208, s8
	v_add_co_ci_u32_e64 v136, null, 0, v214, vcc_lo
	v_pk_fma_f16 v108, v128, v124, v108
	v_mov_b32_e32 v208, v207
	buffer_load_dword v207, off, s[96:99], 0 offset:296 ; 4-byte Folded Reload
	global_load_dword v124, v[135:136], off
	v_add_co_u32 v135, vcc_lo, v213, s8
	v_add_co_ci_u32_e64 v136, null, 0, v218, vcc_lo
	global_load_ushort v126, v[135:136], off
	v_add_co_u32 v135, vcc_lo, v205, s8
	v_add_co_ci_u32_e64 v136, null, 0, v206, vcc_lo
	v_mov_b32_e32 v206, v204
	v_mov_b32_e32 v205, v203
	s_clause 0x2
	buffer_load_dword v203, off, s[96:99], 0 offset:280
	buffer_load_dword v204, off, s[96:99], 0 offset:288
	;; [unrolled: 1-line block ×3, first 2 shown]
	global_load_dword v128, v[135:136], off
	v_add_co_u32 v135, vcc_lo, v210, s8
	v_add_co_ci_u32_e64 v136, null, 0, v208, vcc_lo
	v_mov_b32_e32 v210, v201
	buffer_load_dword v201, off, s[96:99], 0 offset:304 ; 4-byte Folded Reload
	global_load_ushort v135, v[135:136], off
	s_waitcnt vmcnt(7)
	v_ashrrev_i32_e32 v124, v105, v124
	v_and_b32_e32 v124, 0xf0f0f0f, v124
	s_waitcnt vmcnt(6)
	v_mul_u32_u24_e32 v126, 0x10001, v126
	v_lshlrev_b16 v136, 8, v124
	v_and_b32_e32 v138, 0xf00, v124
	v_lshrrev_b32_e32 v124, 16, v124
	v_add_nc_u16 v136, 0xf800, v136
	v_or_b32_sdwa v136, v138, v136 dst_sel:DWORD dst_unused:UNUSED_PAD src0_sel:DWORD src1_sel:BYTE_1
	v_lshlrev_b16 v138, 8, v124
	v_and_b32_e32 v124, 0xf00, v124
	v_add_nc_u16 v136, 0xf800, v136
	v_add_nc_u16 v138, 0xf800, v138
	s_waitcnt vmcnt(0)
	v_mul_u32_u24_e32 v135, 0x10001, v135
	v_or_b32_sdwa v124, v124, v138 dst_sel:DWORD dst_unused:UNUSED_PAD src0_sel:DWORD src1_sel:BYTE_1
	v_lshrrev_b32_e32 v138, 8, v136
	v_cvt_f16_i16_sdwa v136, sext(v136) dst_sel:DWORD dst_unused:UNUSED_PAD src0_sel:BYTE_0
	v_add_nc_u16 v124, 0xf800, v124
	v_cvt_f16_i16_sdwa v138, sext(v138) dst_sel:DWORD dst_unused:UNUSED_PAD src0_sel:BYTE_0
	v_pack_b32_f16 v136, v136, v138
	v_lshrrev_b32_e32 v138, 8, v124
	v_cvt_f16_i16_sdwa v124, sext(v124) dst_sel:DWORD dst_unused:UNUSED_PAD src0_sel:BYTE_0
	v_pk_mul_f16 v136, v136, v126
	v_cvt_f16_i16_sdwa v138, sext(v138) dst_sel:DWORD dst_unused:UNUSED_PAD src0_sel:BYTE_0
	v_pk_fma_f16 v130, v136, v120, v130
	v_pack_b32_f16 v124, v124, v138
	v_pk_mul_f16 v124, v124, v126
	v_ashrrev_i32_e32 v126, v105, v128
	v_pk_fma_f16 v25, v124, v120, v25
	v_and_b32_e32 v126, 0xf0f0f0f, v126
	v_lshlrev_b16 v128, 8, v126
	v_and_b32_e32 v138, 0xf00, v126
	v_lshrrev_b32_e32 v126, 16, v126
	v_add_nc_u16 v128, 0xf800, v128
	v_or_b32_sdwa v128, v138, v128 dst_sel:DWORD dst_unused:UNUSED_PAD src0_sel:DWORD src1_sel:BYTE_1
	v_lshlrev_b16 v138, 8, v126
	v_and_b32_e32 v126, 0xf00, v126
	v_add_nc_u16 v128, 0xf800, v128
	v_add_nc_u16 v138, 0xf800, v138
	v_or_b32_sdwa v126, v126, v138 dst_sel:DWORD dst_unused:UNUSED_PAD src0_sel:DWORD src1_sel:BYTE_1
	v_lshrrev_b32_e32 v138, 8, v128
	v_cvt_f16_i16_sdwa v128, sext(v128) dst_sel:DWORD dst_unused:UNUSED_PAD src0_sel:BYTE_0
	v_add_nc_u16 v126, 0xf800, v126
	v_cvt_f16_i16_sdwa v138, sext(v138) dst_sel:DWORD dst_unused:UNUSED_PAD src0_sel:BYTE_0
	v_pack_b32_f16 v128, v128, v138
	v_lshrrev_b32_e32 v138, 8, v126
	v_cvt_f16_i16_sdwa v126, sext(v126) dst_sel:DWORD dst_unused:UNUSED_PAD src0_sel:BYTE_0
	v_pk_mul_f16 v128, v128, v135
	v_cvt_f16_i16_sdwa v138, sext(v138) dst_sel:DWORD dst_unused:UNUSED_PAD src0_sel:BYTE_0
	v_pk_fma_f16 v124, v128, v120, v137
	v_pack_b32_f16 v126, v126, v138
	buffer_load_dword v138, off, s[96:99], 0 offset:508 ; 4-byte Folded Reload
	v_pk_mul_f16 v126, v126, v135
	v_add_co_u32 v135, vcc_lo, v200, s8
	v_add_co_ci_u32_e64 v136, null, 0, v206, vcc_lo
	v_pk_fma_f16 v108, v126, v120, v108
	v_mov_b32_e32 v200, v191
	buffer_load_dword v191, off, s[96:99], 0 offset:244 ; 4-byte Folded Reload
	global_load_dword v120, v[135:136], off
	v_add_co_u32 v135, vcc_lo, v205, s8
	v_add_co_ci_u32_e64 v136, null, 0, v210, vcc_lo
	global_load_ushort v126, v[135:136], off
	v_add_co_u32 v135, vcc_lo, v196, s8
	v_add_co_ci_u32_e64 v136, null, 0, v199, vcc_lo
	v_mov_b32_e32 v196, v195
	v_mov_b32_e32 v199, v198
	s_clause 0x1
	buffer_load_dword v198, off, s[96:99], 0 offset:264
	buffer_load_dword v195, off, s[96:99], 0 offset:256
	global_load_dword v128, v[135:136], off
	v_add_co_u32 v135, vcc_lo, v202, s8
	v_add_co_ci_u32_e64 v136, null, 0, v200, vcc_lo
	v_mov_b32_e32 v202, v197
	buffer_load_dword v197, off, s[96:99], 0 offset:272 ; 4-byte Folded Reload
	global_load_ushort v135, v[135:136], off
	s_waitcnt vmcnt(6)
	v_ashrrev_i32_e32 v120, v105, v120
	v_and_b32_e32 v120, 0xf0f0f0f, v120
	s_waitcnt vmcnt(5)
	v_mul_u32_u24_e32 v126, 0x10001, v126
	v_lshlrev_b16 v136, 8, v120
	v_and_b32_e32 v137, 0xf00, v120
	v_lshrrev_b32_e32 v120, 16, v120
	v_add_nc_u16 v136, 0xf800, v136
	v_or_b32_sdwa v136, v137, v136 dst_sel:DWORD dst_unused:UNUSED_PAD src0_sel:DWORD src1_sel:BYTE_1
	v_lshlrev_b16 v137, 8, v120
	v_and_b32_e32 v120, 0xf00, v120
	v_add_nc_u16 v136, 0xf800, v136
	v_add_nc_u16 v137, 0xf800, v137
	s_waitcnt vmcnt(0)
	v_mul_u32_u24_e32 v135, 0x10001, v135
	v_or_b32_sdwa v120, v120, v137 dst_sel:DWORD dst_unused:UNUSED_PAD src0_sel:DWORD src1_sel:BYTE_1
	v_lshrrev_b32_e32 v137, 8, v136
	v_cvt_f16_i16_sdwa v136, sext(v136) dst_sel:DWORD dst_unused:UNUSED_PAD src0_sel:BYTE_0
	v_add_nc_u16 v120, 0xf800, v120
	v_cvt_f16_i16_sdwa v137, sext(v137) dst_sel:DWORD dst_unused:UNUSED_PAD src0_sel:BYTE_0
	v_pack_b32_f16 v136, v136, v137
	v_lshrrev_b32_e32 v137, 8, v120
	v_cvt_f16_i16_sdwa v120, sext(v120) dst_sel:DWORD dst_unused:UNUSED_PAD src0_sel:BYTE_0
	v_pk_mul_f16 v136, v136, v126
	v_cvt_f16_i16_sdwa v137, sext(v137) dst_sel:DWORD dst_unused:UNUSED_PAD src0_sel:BYTE_0
	v_pk_fma_f16 v130, v136, v119, v130
	v_pack_b32_f16 v120, v120, v137
	v_pk_mul_f16 v120, v120, v126
	v_ashrrev_i32_e32 v126, v105, v128
	v_pk_fma_f16 v25, v120, v119, v25
	v_and_b32_e32 v126, 0xf0f0f0f, v126
	v_lshlrev_b16 v128, 8, v126
	v_and_b32_e32 v137, 0xf00, v126
	v_lshrrev_b32_e32 v126, 16, v126
	v_add_nc_u16 v128, 0xf800, v128
	v_or_b32_sdwa v128, v137, v128 dst_sel:DWORD dst_unused:UNUSED_PAD src0_sel:DWORD src1_sel:BYTE_1
	v_lshlrev_b16 v137, 8, v126
	v_and_b32_e32 v126, 0xf00, v126
	v_add_nc_u16 v128, 0xf800, v128
	v_add_nc_u16 v137, 0xf800, v137
	v_or_b32_sdwa v126, v126, v137 dst_sel:DWORD dst_unused:UNUSED_PAD src0_sel:DWORD src1_sel:BYTE_1
	v_lshrrev_b32_e32 v137, 8, v128
	v_cvt_f16_i16_sdwa v128, sext(v128) dst_sel:DWORD dst_unused:UNUSED_PAD src0_sel:BYTE_0
	v_add_nc_u16 v126, 0xf800, v126
	v_cvt_f16_i16_sdwa v137, sext(v137) dst_sel:DWORD dst_unused:UNUSED_PAD src0_sel:BYTE_0
	v_pack_b32_f16 v128, v128, v137
	v_lshrrev_b32_e32 v137, 8, v126
	v_cvt_f16_i16_sdwa v126, sext(v126) dst_sel:DWORD dst_unused:UNUSED_PAD src0_sel:BYTE_0
	v_pk_mul_f16 v128, v128, v135
	v_cvt_f16_i16_sdwa v137, sext(v137) dst_sel:DWORD dst_unused:UNUSED_PAD src0_sel:BYTE_0
	v_pk_fma_f16 v124, v128, v119, v124
	v_pack_b32_f16 v126, v126, v137
	buffer_load_dword v137, off, s[96:99], 0 offset:504 ; 4-byte Folded Reload
	v_pk_mul_f16 v126, v126, v135
	v_pk_fma_f16 v108, v126, v119, v108
	v_add_co_u32 v119, vcc_lo, v194, s8
	v_add_co_ci_u32_e64 v120, null, 0, v196, vcc_lo
	v_mov_b32_e32 v194, v190
	buffer_load_dword v190, off, s[96:99], 0 offset:240 ; 4-byte Folded Reload
	global_load_dword v126, v[119:120], off
	v_add_co_u32 v119, vcc_lo, v199, s8
	v_add_co_ci_u32_e64 v120, null, 0, v202, vcc_lo
	global_load_ushort v128, v[119:120], off
	v_add_co_u32 v119, vcc_lo, v96, s8
	v_add_co_ci_u32_e64 v120, null, 0, v92, vcc_lo
	global_load_dword v135, v[119:120], off
	v_add_co_u32 v119, vcc_lo, v194, s8
	v_add_co_ci_u32_e64 v120, null, 0, v59, vcc_lo
	global_load_ushort v119, v[119:120], off
	s_waitcnt vmcnt(3)
	v_ashrrev_i32_e32 v120, v105, v126
	v_and_b32_e32 v120, 0xf0f0f0f, v120
	s_waitcnt vmcnt(2)
	v_mul_u32_u24_e32 v128, 0x10001, v128
	v_lshlrev_b16 v126, 8, v120
	v_and_b32_e32 v136, 0xf00, v120
	v_lshrrev_b32_e32 v120, 16, v120
	v_add_nc_u16 v126, 0xf800, v126
	v_or_b32_sdwa v126, v136, v126 dst_sel:DWORD dst_unused:UNUSED_PAD src0_sel:DWORD src1_sel:BYTE_1
	v_lshlrev_b16 v136, 8, v120
	v_and_b32_e32 v120, 0xf00, v120
	s_waitcnt vmcnt(0)
	v_mul_u32_u24_e32 v119, 0x10001, v119
	v_add_nc_u16 v126, 0xf800, v126
	v_add_nc_u16 v136, 0xf800, v136
	v_or_b32_sdwa v120, v120, v136 dst_sel:DWORD dst_unused:UNUSED_PAD src0_sel:DWORD src1_sel:BYTE_1
	v_lshrrev_b32_e32 v136, 8, v126
	v_cvt_f16_i16_sdwa v126, sext(v126) dst_sel:DWORD dst_unused:UNUSED_PAD src0_sel:BYTE_0
	v_add_nc_u16 v120, 0xf800, v120
	v_cvt_f16_i16_sdwa v136, sext(v136) dst_sel:DWORD dst_unused:UNUSED_PAD src0_sel:BYTE_0
	v_pack_b32_f16 v126, v126, v136
	v_lshrrev_b32_e32 v136, 8, v120
	v_cvt_f16_i16_sdwa v120, sext(v120) dst_sel:DWORD dst_unused:UNUSED_PAD src0_sel:BYTE_0
	v_pk_mul_f16 v126, v126, v128
	v_cvt_f16_i16_sdwa v136, sext(v136) dst_sel:DWORD dst_unused:UNUSED_PAD src0_sel:BYTE_0
	v_pk_fma_f16 v126, v126, v116, v130
	v_pack_b32_f16 v120, v120, v136
	v_pk_mul_f16 v120, v120, v128
	v_ashrrev_i32_e32 v128, v105, v135
	v_pk_fma_f16 v25, v120, v116, v25
	v_and_b32_e32 v128, 0xf0f0f0f, v128
	v_lshlrev_b16 v135, 8, v128
	v_and_b32_e32 v136, 0xf00, v128
	v_lshrrev_b32_e32 v128, 16, v128
	v_add_nc_u16 v135, 0xf800, v135
	v_or_b32_sdwa v135, v136, v135 dst_sel:DWORD dst_unused:UNUSED_PAD src0_sel:DWORD src1_sel:BYTE_1
	v_lshlrev_b16 v136, 8, v128
	v_and_b32_e32 v128, 0xf00, v128
	v_add_nc_u16 v135, 0xf800, v135
	v_add_nc_u16 v136, 0xf800, v136
	v_or_b32_sdwa v128, v128, v136 dst_sel:DWORD dst_unused:UNUSED_PAD src0_sel:DWORD src1_sel:BYTE_1
	v_lshrrev_b32_e32 v136, 8, v135
	v_cvt_f16_i16_sdwa v135, sext(v135) dst_sel:DWORD dst_unused:UNUSED_PAD src0_sel:BYTE_0
	v_add_nc_u16 v128, 0xf800, v128
	v_cvt_f16_i16_sdwa v136, sext(v136) dst_sel:DWORD dst_unused:UNUSED_PAD src0_sel:BYTE_0
	v_pack_b32_f16 v135, v135, v136
	v_lshrrev_b32_e32 v136, 8, v128
	v_cvt_f16_i16_sdwa v128, sext(v128) dst_sel:DWORD dst_unused:UNUSED_PAD src0_sel:BYTE_0
	v_pk_mul_f16 v135, v135, v119
	v_cvt_f16_i16_sdwa v136, sext(v136) dst_sel:DWORD dst_unused:UNUSED_PAD src0_sel:BYTE_0
	v_pk_fma_f16 v124, v135, v116, v124
	v_pack_b32_f16 v128, v128, v136
	buffer_load_dword v136, off, s[96:99], 0 offset:500 ; 4-byte Folded Reload
	v_pk_mul_f16 v119, v128, v119
	v_pk_fma_f16 v108, v119, v116, v108
	v_add_co_u32 v119, vcc_lo, v102, s8
	v_add_co_ci_u32_e64 v120, null, 0, v103, vcc_lo
	global_load_dword v116, v[119:120], off
	v_add_co_u32 v119, vcc_lo, v101, s8
	v_add_co_ci_u32_e64 v120, null, 0, v104, vcc_lo
	global_load_ushort v128, v[119:120], off
	v_add_co_u32 v119, vcc_lo, v98, s8
	v_add_co_ci_u32_e64 v120, null, 0, v99, vcc_lo
	global_load_dword v130, v[119:120], off
	v_add_co_u32 v119, vcc_lo, v100, s8
	v_add_co_ci_u32_e64 v120, null, 0, v70, vcc_lo
	v_mov_b32_e32 v70, v56
	v_mov_b32_e32 v56, v193
	global_load_ushort v119, v[119:120], off
	s_waitcnt vmcnt(3)
	v_ashrrev_i32_e32 v116, v105, v116
	v_and_b32_e32 v116, 0xf0f0f0f, v116
	s_waitcnt vmcnt(2)
	v_mul_u32_u24_e32 v128, 0x10001, v128
	v_lshlrev_b16 v120, 8, v116
	v_and_b32_e32 v135, 0xf00, v116
	v_lshrrev_b32_e32 v116, 16, v116
	v_add_nc_u16 v120, 0xf800, v120
	v_or_b32_sdwa v120, v135, v120 dst_sel:DWORD dst_unused:UNUSED_PAD src0_sel:DWORD src1_sel:BYTE_1
	v_lshlrev_b16 v135, 8, v116
	v_and_b32_e32 v116, 0xf00, v116
	s_waitcnt vmcnt(0)
	v_mul_u32_u24_e32 v119, 0x10001, v119
	v_add_nc_u16 v120, 0xf800, v120
	v_add_nc_u16 v135, 0xf800, v135
	v_or_b32_sdwa v116, v116, v135 dst_sel:DWORD dst_unused:UNUSED_PAD src0_sel:DWORD src1_sel:BYTE_1
	v_lshrrev_b32_e32 v135, 8, v120
	v_cvt_f16_i16_sdwa v120, sext(v120) dst_sel:DWORD dst_unused:UNUSED_PAD src0_sel:BYTE_0
	v_add_nc_u16 v116, 0xf800, v116
	v_cvt_f16_i16_sdwa v135, sext(v135) dst_sel:DWORD dst_unused:UNUSED_PAD src0_sel:BYTE_0
	v_pack_b32_f16 v120, v120, v135
	v_lshrrev_b32_e32 v135, 8, v116
	v_cvt_f16_i16_sdwa v116, sext(v116) dst_sel:DWORD dst_unused:UNUSED_PAD src0_sel:BYTE_0
	v_pk_mul_f16 v120, v120, v128
	v_cvt_f16_i16_sdwa v135, sext(v135) dst_sel:DWORD dst_unused:UNUSED_PAD src0_sel:BYTE_0
	v_pk_fma_f16 v120, v120, v109, v126
	v_pack_b32_f16 v116, v116, v135
	v_pk_mul_f16 v116, v116, v128
	v_ashrrev_i32_e32 v128, v105, v130
	v_pk_fma_f16 v25, v116, v109, v25
	v_and_b32_e32 v128, 0xf0f0f0f, v128
	v_lshlrev_b16 v130, 8, v128
	v_and_b32_e32 v135, 0xf00, v128
	v_lshrrev_b32_e32 v128, 16, v128
	v_add_nc_u16 v130, 0xf800, v130
	v_or_b32_sdwa v130, v135, v130 dst_sel:DWORD dst_unused:UNUSED_PAD src0_sel:DWORD src1_sel:BYTE_1
	v_lshlrev_b16 v135, 8, v128
	v_and_b32_e32 v128, 0xf00, v128
	v_add_nc_u16 v130, 0xf800, v130
	v_add_nc_u16 v135, 0xf800, v135
	v_or_b32_sdwa v128, v128, v135 dst_sel:DWORD dst_unused:UNUSED_PAD src0_sel:DWORD src1_sel:BYTE_1
	v_lshrrev_b32_e32 v135, 8, v130
	v_cvt_f16_i16_sdwa v130, sext(v130) dst_sel:DWORD dst_unused:UNUSED_PAD src0_sel:BYTE_0
	v_add_nc_u16 v128, 0xf800, v128
	v_cvt_f16_i16_sdwa v135, sext(v135) dst_sel:DWORD dst_unused:UNUSED_PAD src0_sel:BYTE_0
	v_pack_b32_f16 v130, v130, v135
	v_lshrrev_b32_e32 v135, 8, v128
	v_cvt_f16_i16_sdwa v128, sext(v128) dst_sel:DWORD dst_unused:UNUSED_PAD src0_sel:BYTE_0
	v_pk_mul_f16 v130, v130, v119
	v_cvt_f16_i16_sdwa v135, sext(v135) dst_sel:DWORD dst_unused:UNUSED_PAD src0_sel:BYTE_0
	v_pk_fma_f16 v116, v130, v109, v124
	v_pack_b32_f16 v128, v128, v135
	buffer_load_dword v135, off, s[96:99], 0 offset:496 ; 4-byte Folded Reload
	v_pk_mul_f16 v119, v128, v119
	v_pk_fma_f16 v119, v119, v109, v108
	v_add_co_u32 v108, vcc_lo, v94, s8
	v_add_co_ci_u32_e64 v109, null, 0, v95, vcc_lo
	global_load_dword v124, v[108:109], off
	v_add_co_u32 v108, vcc_lo, v57, s8
	v_add_co_ci_u32_e64 v109, null, 0, v97, vcc_lo
	v_mov_b32_e32 v57, v217
	buffer_load_dword v217, off, s[96:99], 0 offset:380 ; 4-byte Folded Reload
	global_load_ushort v126, v[108:109], off
	v_add_co_u32 v108, vcc_lo, v90, s8
	v_add_co_ci_u32_e64 v109, null, 0, v91, vcc_lo
	global_load_dword v128, v[108:109], off
	v_add_co_u32 v108, vcc_lo, v48, s8
	v_add_co_ci_u32_e64 v109, null, 0, v93, vcc_lo
	v_mov_b32_e32 v48, v44
	global_load_ushort v108, v[108:109], off
	s_waitcnt vmcnt(4)
	v_ashrrev_i32_e32 v109, v105, v124
	v_and_b32_e32 v109, 0xf0f0f0f, v109
	s_waitcnt vmcnt(2)
	v_mul_u32_u24_e32 v126, 0x10001, v126
	v_lshlrev_b16 v124, 8, v109
	v_and_b32_e32 v130, 0xf00, v109
	v_lshrrev_b32_e32 v109, 16, v109
	v_add_nc_u16 v124, 0xf800, v124
	v_or_b32_sdwa v124, v130, v124 dst_sel:DWORD dst_unused:UNUSED_PAD src0_sel:DWORD src1_sel:BYTE_1
	v_lshlrev_b16 v130, 8, v109
	v_and_b32_e32 v109, 0xf00, v109
	s_waitcnt vmcnt(0)
	v_mul_u32_u24_e32 v108, 0x10001, v108
	v_add_nc_u16 v124, 0xf800, v124
	v_add_nc_u16 v130, 0xf800, v130
	v_or_b32_sdwa v109, v109, v130 dst_sel:DWORD dst_unused:UNUSED_PAD src0_sel:DWORD src1_sel:BYTE_1
	v_lshrrev_b32_e32 v130, 8, v124
	v_cvt_f16_i16_sdwa v124, sext(v124) dst_sel:DWORD dst_unused:UNUSED_PAD src0_sel:BYTE_0
	v_add_nc_u16 v109, 0xf800, v109
	v_cvt_f16_i16_sdwa v130, sext(v130) dst_sel:DWORD dst_unused:UNUSED_PAD src0_sel:BYTE_0
	v_pack_b32_f16 v124, v124, v130
	v_lshrrev_b32_e32 v130, 8, v109
	v_cvt_f16_i16_sdwa v109, sext(v109) dst_sel:DWORD dst_unused:UNUSED_PAD src0_sel:BYTE_0
	v_pk_mul_f16 v124, v124, v126
	v_cvt_f16_i16_sdwa v130, sext(v130) dst_sel:DWORD dst_unused:UNUSED_PAD src0_sel:BYTE_0
	v_pk_fma_f16 v120, v124, v110, v120
	v_pack_b32_f16 v109, v109, v130
	v_pk_mul_f16 v109, v109, v126
	v_ashrrev_i32_e32 v126, v105, v128
	v_pk_fma_f16 v25, v109, v110, v25
	v_and_b32_e32 v126, 0xf0f0f0f, v126
	v_lshlrev_b16 v128, 8, v126
	v_and_b32_e32 v130, 0xf00, v126
	v_lshrrev_b32_e32 v126, 16, v126
	v_add_nc_u16 v128, 0xf800, v128
	v_or_b32_sdwa v128, v130, v128 dst_sel:DWORD dst_unused:UNUSED_PAD src0_sel:DWORD src1_sel:BYTE_1
	v_lshlrev_b16 v130, 8, v126
	v_and_b32_e32 v126, 0xf00, v126
	v_add_nc_u16 v128, 0xf800, v128
	v_add_nc_u16 v130, 0xf800, v130
	v_or_b32_sdwa v126, v126, v130 dst_sel:DWORD dst_unused:UNUSED_PAD src0_sel:DWORD src1_sel:BYTE_1
	v_lshrrev_b32_e32 v130, 8, v128
	v_cvt_f16_i16_sdwa v128, sext(v128) dst_sel:DWORD dst_unused:UNUSED_PAD src0_sel:BYTE_0
	v_add_nc_u16 v126, 0xf800, v126
	v_cvt_f16_i16_sdwa v130, sext(v130) dst_sel:DWORD dst_unused:UNUSED_PAD src0_sel:BYTE_0
	v_pack_b32_f16 v128, v128, v130
	v_lshrrev_b32_e32 v130, 8, v126
	v_cvt_f16_i16_sdwa v126, sext(v126) dst_sel:DWORD dst_unused:UNUSED_PAD src0_sel:BYTE_0
	v_pk_mul_f16 v128, v128, v108
	v_cvt_f16_i16_sdwa v130, sext(v130) dst_sel:DWORD dst_unused:UNUSED_PAD src0_sel:BYTE_0
	v_pk_fma_f16 v116, v128, v110, v116
	v_pack_b32_f16 v126, v126, v130
	buffer_load_dword v130, off, s[96:99], 0 offset:480 ; 4-byte Folded Reload
	v_pk_mul_f16 v108, v126, v108
	v_pk_fma_f16 v110, v108, v110, v119
	v_add_co_u32 v108, vcc_lo, v86, s8
	v_add_co_ci_u32_e64 v109, null, 0, v87, vcc_lo
	global_load_dword v119, v[108:109], off
	v_add_co_u32 v108, vcc_lo, v88, s8
	v_add_co_ci_u32_e64 v109, null, 0, v89, vcc_lo
	global_load_ushort v124, v[108:109], off
	v_add_co_u32 v108, vcc_lo, v82, s8
	v_add_co_ci_u32_e64 v109, null, 0, v83, vcc_lo
	global_load_dword v126, v[108:109], off
	v_add_co_u32 v108, vcc_lo, v84, s8
	v_add_co_ci_u32_e64 v109, null, 0, v85, vcc_lo
	global_load_ushort v108, v[108:109], off
	s_waitcnt vmcnt(3)
	v_ashrrev_i32_e32 v109, v105, v119
	v_and_b32_e32 v109, 0xf0f0f0f, v109
	s_waitcnt vmcnt(2)
	v_mul_u32_u24_e32 v124, 0x10001, v124
	v_lshlrev_b16 v119, 8, v109
	v_and_b32_e32 v128, 0xf00, v109
	v_lshrrev_b32_e32 v109, 16, v109
	v_add_nc_u16 v119, 0xf800, v119
	v_or_b32_sdwa v119, v128, v119 dst_sel:DWORD dst_unused:UNUSED_PAD src0_sel:DWORD src1_sel:BYTE_1
	v_lshlrev_b16 v128, 8, v109
	v_and_b32_e32 v109, 0xf00, v109
	s_waitcnt vmcnt(0)
	v_mul_u32_u24_e32 v108, 0x10001, v108
	v_add_nc_u16 v119, 0xf800, v119
	v_add_nc_u16 v128, 0xf800, v128
	v_or_b32_sdwa v109, v109, v128 dst_sel:DWORD dst_unused:UNUSED_PAD src0_sel:DWORD src1_sel:BYTE_1
	v_lshrrev_b32_e32 v128, 8, v119
	v_cvt_f16_i16_sdwa v119, sext(v119) dst_sel:DWORD dst_unused:UNUSED_PAD src0_sel:BYTE_0
	v_add_nc_u16 v109, 0xf800, v109
	v_cvt_f16_i16_sdwa v128, sext(v128) dst_sel:DWORD dst_unused:UNUSED_PAD src0_sel:BYTE_0
	v_pack_b32_f16 v119, v119, v128
	v_lshrrev_b32_e32 v128, 8, v109
	v_cvt_f16_i16_sdwa v109, sext(v109) dst_sel:DWORD dst_unused:UNUSED_PAD src0_sel:BYTE_0
	v_pk_mul_f16 v119, v119, v124
	v_cvt_f16_i16_sdwa v128, sext(v128) dst_sel:DWORD dst_unused:UNUSED_PAD src0_sel:BYTE_0
	v_pk_fma_f16 v119, v119, v111, v120
	v_pack_b32_f16 v109, v109, v128
	v_pk_mul_f16 v109, v109, v124
	v_ashrrev_i32_e32 v124, v105, v126
	v_pk_fma_f16 v25, v109, v111, v25
	v_and_b32_e32 v124, 0xf0f0f0f, v124
	v_lshlrev_b16 v126, 8, v124
	v_and_b32_e32 v128, 0xf00, v124
	v_lshrrev_b32_e32 v124, 16, v124
	v_add_nc_u16 v126, 0xf800, v126
	v_or_b32_sdwa v126, v128, v126 dst_sel:DWORD dst_unused:UNUSED_PAD src0_sel:DWORD src1_sel:BYTE_1
	v_lshlrev_b16 v128, 8, v124
	v_and_b32_e32 v124, 0xf00, v124
	v_add_nc_u16 v126, 0xf800, v126
	v_add_nc_u16 v128, 0xf800, v128
	v_or_b32_sdwa v124, v124, v128 dst_sel:DWORD dst_unused:UNUSED_PAD src0_sel:DWORD src1_sel:BYTE_1
	v_lshrrev_b32_e32 v128, 8, v126
	v_cvt_f16_i16_sdwa v126, sext(v126) dst_sel:DWORD dst_unused:UNUSED_PAD src0_sel:BYTE_0
	v_add_nc_u16 v124, 0xf800, v124
	v_cvt_f16_i16_sdwa v128, sext(v128) dst_sel:DWORD dst_unused:UNUSED_PAD src0_sel:BYTE_0
	v_pack_b32_f16 v126, v126, v128
	v_lshrrev_b32_e32 v128, 8, v124
	v_cvt_f16_i16_sdwa v124, sext(v124) dst_sel:DWORD dst_unused:UNUSED_PAD src0_sel:BYTE_0
	v_pk_mul_f16 v126, v126, v108
	v_cvt_f16_i16_sdwa v128, sext(v128) dst_sel:DWORD dst_unused:UNUSED_PAD src0_sel:BYTE_0
	v_pk_fma_f16 v116, v126, v111, v116
	v_pack_b32_f16 v124, v124, v128
	buffer_load_dword v128, off, s[96:99], 0 offset:472 ; 4-byte Folded Reload
	v_pk_mul_f16 v108, v124, v108
	v_pk_fma_f16 v110, v108, v111, v110
	v_add_co_u32 v108, vcc_lo, v78, s8
	v_add_co_ci_u32_e64 v109, null, 0, v79, vcc_lo
	global_load_dword v111, v[108:109], off
	v_add_co_u32 v108, vcc_lo, v80, s8
	v_add_co_ci_u32_e64 v109, null, 0, v81, vcc_lo
	global_load_ushort v120, v[108:109], off
	v_add_co_u32 v108, vcc_lo, v74, s8
	v_add_co_ci_u32_e64 v109, null, 0, v75, vcc_lo
	global_load_dword v124, v[108:109], off
	v_add_co_u32 v108, vcc_lo, v76, s8
	v_add_co_ci_u32_e64 v109, null, 0, v77, vcc_lo
	global_load_ushort v108, v[108:109], off
	s_waitcnt vmcnt(3)
	v_ashrrev_i32_e32 v109, v105, v111
	v_and_b32_e32 v109, 0xf0f0f0f, v109
	s_waitcnt vmcnt(2)
	v_mul_u32_u24_e32 v120, 0x10001, v120
	v_lshlrev_b16 v111, 8, v109
	v_and_b32_e32 v126, 0xf00, v109
	v_lshrrev_b32_e32 v109, 16, v109
	v_add_nc_u16 v111, 0xf800, v111
	v_or_b32_sdwa v111, v126, v111 dst_sel:DWORD dst_unused:UNUSED_PAD src0_sel:DWORD src1_sel:BYTE_1
	v_lshlrev_b16 v126, 8, v109
	v_and_b32_e32 v109, 0xf00, v109
	s_waitcnt vmcnt(0)
	v_mul_u32_u24_e32 v108, 0x10001, v108
	v_add_nc_u16 v111, 0xf800, v111
	v_add_nc_u16 v126, 0xf800, v126
	v_or_b32_sdwa v109, v109, v126 dst_sel:DWORD dst_unused:UNUSED_PAD src0_sel:DWORD src1_sel:BYTE_1
	v_lshrrev_b32_e32 v126, 8, v111
	v_cvt_f16_i16_sdwa v111, sext(v111) dst_sel:DWORD dst_unused:UNUSED_PAD src0_sel:BYTE_0
	v_add_nc_u16 v109, 0xf800, v109
	v_cvt_f16_i16_sdwa v126, sext(v126) dst_sel:DWORD dst_unused:UNUSED_PAD src0_sel:BYTE_0
	v_pack_b32_f16 v111, v111, v126
	v_lshrrev_b32_e32 v126, 8, v109
	v_cvt_f16_i16_sdwa v109, sext(v109) dst_sel:DWORD dst_unused:UNUSED_PAD src0_sel:BYTE_0
	v_pk_mul_f16 v111, v111, v120
	v_cvt_f16_i16_sdwa v126, sext(v126) dst_sel:DWORD dst_unused:UNUSED_PAD src0_sel:BYTE_0
	v_pk_fma_f16 v111, v111, v112, v119
	v_pack_b32_f16 v109, v109, v126
	v_pk_mul_f16 v109, v109, v120
	v_ashrrev_i32_e32 v120, v105, v124
	v_pk_fma_f16 v25, v109, v112, v25
	v_and_b32_e32 v120, 0xf0f0f0f, v120
	v_lshlrev_b16 v124, 8, v120
	v_and_b32_e32 v126, 0xf00, v120
	v_lshrrev_b32_e32 v120, 16, v120
	v_add_nc_u16 v124, 0xf800, v124
	v_or_b32_sdwa v124, v126, v124 dst_sel:DWORD dst_unused:UNUSED_PAD src0_sel:DWORD src1_sel:BYTE_1
	v_lshlrev_b16 v126, 8, v120
	v_and_b32_e32 v120, 0xf00, v120
	v_add_nc_u16 v124, 0xf800, v124
	v_add_nc_u16 v126, 0xf800, v126
	v_or_b32_sdwa v120, v120, v126 dst_sel:DWORD dst_unused:UNUSED_PAD src0_sel:DWORD src1_sel:BYTE_1
	v_lshrrev_b32_e32 v126, 8, v124
	v_cvt_f16_i16_sdwa v124, sext(v124) dst_sel:DWORD dst_unused:UNUSED_PAD src0_sel:BYTE_0
	v_add_nc_u16 v120, 0xf800, v120
	v_cvt_f16_i16_sdwa v126, sext(v126) dst_sel:DWORD dst_unused:UNUSED_PAD src0_sel:BYTE_0
	v_pack_b32_f16 v124, v124, v126
	v_lshrrev_b32_e32 v126, 8, v120
	v_cvt_f16_i16_sdwa v120, sext(v120) dst_sel:DWORD dst_unused:UNUSED_PAD src0_sel:BYTE_0
	v_pk_mul_f16 v124, v124, v108
	v_cvt_f16_i16_sdwa v126, sext(v126) dst_sel:DWORD dst_unused:UNUSED_PAD src0_sel:BYTE_0
	v_pk_fma_f16 v116, v124, v112, v116
	v_pack_b32_f16 v120, v120, v126
	buffer_load_dword v126, off, s[96:99], 0 offset:464 ; 4-byte Folded Reload
	v_pk_mul_f16 v108, v120, v108
	v_pk_fma_f16 v110, v108, v112, v110
	v_add_co_u32 v108, vcc_lo, v133, s8
	v_add_co_ci_u32_e64 v109, null, 0, v71, vcc_lo
	global_load_dword v112, v[108:109], off
	v_add_co_u32 v108, vcc_lo, v72, s8
	v_add_co_ci_u32_e64 v109, null, 0, v73, vcc_lo
	global_load_ushort v119, v[108:109], off
	v_add_co_u32 v108, vcc_lo, v55, s8
	v_add_co_ci_u32_e64 v109, null, 0, v57, vcc_lo
	global_load_dword v120, v[108:109], off
	v_add_co_u32 v108, vcc_lo, v70, s8
	v_add_co_ci_u32_e64 v109, null, 0, v52, vcc_lo
	global_load_ushort v108, v[108:109], off
	s_waitcnt vmcnt(3)
	v_ashrrev_i32_e32 v109, v105, v112
	v_and_b32_e32 v109, 0xf0f0f0f, v109
	s_waitcnt vmcnt(2)
	v_mul_u32_u24_e32 v119, 0x10001, v119
	v_lshlrev_b16 v112, 8, v109
	v_and_b32_e32 v124, 0xf00, v109
	v_lshrrev_b32_e32 v109, 16, v109
	v_add_nc_u16 v112, 0xf800, v112
	v_or_b32_sdwa v112, v124, v112 dst_sel:DWORD dst_unused:UNUSED_PAD src0_sel:DWORD src1_sel:BYTE_1
	v_lshlrev_b16 v124, 8, v109
	v_and_b32_e32 v109, 0xf00, v109
	s_waitcnt vmcnt(0)
	v_mul_u32_u24_e32 v108, 0x10001, v108
	v_add_nc_u16 v112, 0xf800, v112
	v_add_nc_u16 v124, 0xf800, v124
	v_or_b32_sdwa v109, v109, v124 dst_sel:DWORD dst_unused:UNUSED_PAD src0_sel:DWORD src1_sel:BYTE_1
	v_lshrrev_b32_e32 v124, 8, v112
	v_cvt_f16_i16_sdwa v112, sext(v112) dst_sel:DWORD dst_unused:UNUSED_PAD src0_sel:BYTE_0
	v_add_nc_u16 v109, 0xf800, v109
	v_cvt_f16_i16_sdwa v124, sext(v124) dst_sel:DWORD dst_unused:UNUSED_PAD src0_sel:BYTE_0
	v_pack_b32_f16 v112, v112, v124
	v_lshrrev_b32_e32 v124, 8, v109
	v_cvt_f16_i16_sdwa v109, sext(v109) dst_sel:DWORD dst_unused:UNUSED_PAD src0_sel:BYTE_0
	v_pk_mul_f16 v112, v112, v119
	v_cvt_f16_i16_sdwa v124, sext(v124) dst_sel:DWORD dst_unused:UNUSED_PAD src0_sel:BYTE_0
	v_pk_fma_f16 v111, v112, v113, v111
	v_pack_b32_f16 v109, v109, v124
	v_pk_mul_f16 v109, v109, v119
	v_ashrrev_i32_e32 v119, v105, v120
	v_pk_fma_f16 v25, v109, v113, v25
	v_and_b32_e32 v119, 0xf0f0f0f, v119
	v_lshlrev_b16 v120, 8, v119
	v_and_b32_e32 v124, 0xf00, v119
	v_lshrrev_b32_e32 v119, 16, v119
	v_add_nc_u16 v120, 0xf800, v120
	v_or_b32_sdwa v120, v124, v120 dst_sel:DWORD dst_unused:UNUSED_PAD src0_sel:DWORD src1_sel:BYTE_1
	v_lshlrev_b16 v124, 8, v119
	v_and_b32_e32 v119, 0xf00, v119
	v_add_nc_u16 v120, 0xf800, v120
	v_add_nc_u16 v124, 0xf800, v124
	v_or_b32_sdwa v119, v119, v124 dst_sel:DWORD dst_unused:UNUSED_PAD src0_sel:DWORD src1_sel:BYTE_1
	v_lshrrev_b32_e32 v124, 8, v120
	v_cvt_f16_i16_sdwa v120, sext(v120) dst_sel:DWORD dst_unused:UNUSED_PAD src0_sel:BYTE_0
	v_add_nc_u16 v119, 0xf800, v119
	v_cvt_f16_i16_sdwa v124, sext(v124) dst_sel:DWORD dst_unused:UNUSED_PAD src0_sel:BYTE_0
	v_pack_b32_f16 v120, v120, v124
	v_lshrrev_b32_e32 v124, 8, v119
	v_cvt_f16_i16_sdwa v119, sext(v119) dst_sel:DWORD dst_unused:UNUSED_PAD src0_sel:BYTE_0
	v_pk_mul_f16 v120, v120, v108
	v_cvt_f16_i16_sdwa v124, sext(v124) dst_sel:DWORD dst_unused:UNUSED_PAD src0_sel:BYTE_0
	v_pk_fma_f16 v112, v120, v113, v116
	v_pack_b32_f16 v119, v119, v124
	buffer_load_dword v124, off, s[96:99], 0 offset:456 ; 4-byte Folded Reload
	v_pk_mul_f16 v108, v119, v108
	v_pk_fma_f16 v110, v108, v113, v110
	v_add_co_u32 v108, vcc_lo, v0, s8
	v_add_co_ci_u32_e64 v109, null, 0, v51, vcc_lo
	global_load_dword v113, v[108:109], off
	v_add_co_u32 v108, vcc_lo, v53, s8
	v_add_co_ci_u32_e64 v109, null, 0, v26, vcc_lo
	global_load_ushort v116, v[108:109], off
	v_add_co_u32 v108, vcc_lo, v47, s8
	v_add_co_ci_u32_e64 v109, null, 0, v1, vcc_lo
	v_mov_b32_e32 v1, v60
	global_load_dword v119, v[108:109], off
	v_add_co_u32 v108, vcc_lo, v49, s8
	v_add_co_ci_u32_e64 v109, null, 0, v50, vcc_lo
	global_load_ushort v108, v[108:109], off
	s_waitcnt vmcnt(3)
	v_ashrrev_i32_e32 v109, v105, v113
	v_and_b32_e32 v109, 0xf0f0f0f, v109
	s_waitcnt vmcnt(2)
	v_mul_u32_u24_e32 v116, 0x10001, v116
	v_lshlrev_b16 v113, 8, v109
	v_and_b32_e32 v120, 0xf00, v109
	v_lshrrev_b32_e32 v109, 16, v109
	v_add_nc_u16 v113, 0xf800, v113
	v_or_b32_sdwa v113, v120, v113 dst_sel:DWORD dst_unused:UNUSED_PAD src0_sel:DWORD src1_sel:BYTE_1
	v_lshlrev_b16 v120, 8, v109
	v_and_b32_e32 v109, 0xf00, v109
	s_waitcnt vmcnt(0)
	v_mul_u32_u24_e32 v108, 0x10001, v108
	v_add_nc_u16 v113, 0xf800, v113
	v_add_nc_u16 v120, 0xf800, v120
	v_or_b32_sdwa v109, v109, v120 dst_sel:DWORD dst_unused:UNUSED_PAD src0_sel:DWORD src1_sel:BYTE_1
	v_lshrrev_b32_e32 v120, 8, v113
	v_cvt_f16_i16_sdwa v113, sext(v113) dst_sel:DWORD dst_unused:UNUSED_PAD src0_sel:BYTE_0
	v_add_nc_u16 v109, 0xf800, v109
	v_cvt_f16_i16_sdwa v120, sext(v120) dst_sel:DWORD dst_unused:UNUSED_PAD src0_sel:BYTE_0
	v_pack_b32_f16 v113, v113, v120
	v_lshrrev_b32_e32 v120, 8, v109
	v_cvt_f16_i16_sdwa v109, sext(v109) dst_sel:DWORD dst_unused:UNUSED_PAD src0_sel:BYTE_0
	v_pk_mul_f16 v113, v113, v116
	v_cvt_f16_i16_sdwa v120, sext(v120) dst_sel:DWORD dst_unused:UNUSED_PAD src0_sel:BYTE_0
	v_pk_fma_f16 v111, v113, v114, v111
	v_pack_b32_f16 v109, v109, v120
	v_pk_mul_f16 v109, v109, v116
	v_ashrrev_i32_e32 v116, v105, v119
	v_pk_fma_f16 v25, v109, v114, v25
	v_and_b32_e32 v116, 0xf0f0f0f, v116
	v_lshlrev_b16 v119, 8, v116
	v_and_b32_e32 v120, 0xf00, v116
	v_lshrrev_b32_e32 v116, 16, v116
	v_add_nc_u16 v119, 0xf800, v119
	v_or_b32_sdwa v119, v120, v119 dst_sel:DWORD dst_unused:UNUSED_PAD src0_sel:DWORD src1_sel:BYTE_1
	v_lshlrev_b16 v120, 8, v116
	v_and_b32_e32 v116, 0xf00, v116
	v_add_nc_u16 v119, 0xf800, v119
	v_add_nc_u16 v120, 0xf800, v120
	v_or_b32_sdwa v116, v116, v120 dst_sel:DWORD dst_unused:UNUSED_PAD src0_sel:DWORD src1_sel:BYTE_1
	v_lshrrev_b32_e32 v120, 8, v119
	v_cvt_f16_i16_sdwa v119, sext(v119) dst_sel:DWORD dst_unused:UNUSED_PAD src0_sel:BYTE_0
	v_add_nc_u16 v116, 0xf800, v116
	v_cvt_f16_i16_sdwa v120, sext(v120) dst_sel:DWORD dst_unused:UNUSED_PAD src0_sel:BYTE_0
	v_pack_b32_f16 v119, v119, v120
	v_lshrrev_b32_e32 v120, 8, v116
	v_cvt_f16_i16_sdwa v116, sext(v116) dst_sel:DWORD dst_unused:UNUSED_PAD src0_sel:BYTE_0
	v_pk_mul_f16 v119, v119, v108
	v_cvt_f16_i16_sdwa v120, sext(v120) dst_sel:DWORD dst_unused:UNUSED_PAD src0_sel:BYTE_0
	v_pk_fma_f16 v112, v119, v114, v112
	v_pack_b32_f16 v116, v116, v120
	buffer_load_dword v120, off, s[96:99], 0 offset:444 ; 4-byte Folded Reload
	v_pk_mul_f16 v108, v116, v108
	v_pk_fma_f16 v110, v108, v114, v110
	v_add_co_u32 v108, vcc_lo, v43, s8
	v_add_co_ci_u32_e64 v109, null, 0, v44, vcc_lo
	v_mov_b32_e32 v44, v37
	global_load_dword v113, v[108:109], off
	v_add_co_u32 v108, vcc_lo, v45, s8
	v_add_co_ci_u32_e64 v109, null, 0, v46, vcc_lo
	global_load_ushort v114, v[108:109], off
	v_add_co_u32 v108, vcc_lo, v39, s8
	v_add_co_ci_u32_e64 v109, null, 0, v40, vcc_lo
	global_load_dword v116, v[108:109], off
	v_add_co_u32 v108, vcc_lo, v41, s8
	v_add_co_ci_u32_e64 v109, null, 0, v42, vcc_lo
	global_load_ushort v108, v[108:109], off
	s_waitcnt vmcnt(3)
	v_ashrrev_i32_e32 v109, v105, v113
	v_and_b32_e32 v109, 0xf0f0f0f, v109
	s_waitcnt vmcnt(2)
	v_mul_u32_u24_e32 v114, 0x10001, v114
	v_lshlrev_b16 v113, 8, v109
	v_and_b32_e32 v119, 0xf00, v109
	v_lshrrev_b32_e32 v109, 16, v109
	v_add_nc_u16 v113, 0xf800, v113
	v_or_b32_sdwa v113, v119, v113 dst_sel:DWORD dst_unused:UNUSED_PAD src0_sel:DWORD src1_sel:BYTE_1
	v_lshlrev_b16 v119, 8, v109
	v_and_b32_e32 v109, 0xf00, v109
	s_waitcnt vmcnt(0)
	v_mul_u32_u24_e32 v108, 0x10001, v108
	v_add_nc_u16 v113, 0xf800, v113
	v_add_nc_u16 v119, 0xf800, v119
	v_or_b32_sdwa v109, v109, v119 dst_sel:DWORD dst_unused:UNUSED_PAD src0_sel:DWORD src1_sel:BYTE_1
	v_lshrrev_b32_e32 v119, 8, v113
	v_cvt_f16_i16_sdwa v113, sext(v113) dst_sel:DWORD dst_unused:UNUSED_PAD src0_sel:BYTE_0
	v_add_nc_u16 v109, 0xf800, v109
	v_cvt_f16_i16_sdwa v119, sext(v119) dst_sel:DWORD dst_unused:UNUSED_PAD src0_sel:BYTE_0
	v_pack_b32_f16 v113, v113, v119
	v_lshrrev_b32_e32 v119, 8, v109
	v_cvt_f16_i16_sdwa v109, sext(v109) dst_sel:DWORD dst_unused:UNUSED_PAD src0_sel:BYTE_0
	v_pk_mul_f16 v113, v113, v114
	v_cvt_f16_i16_sdwa v119, sext(v119) dst_sel:DWORD dst_unused:UNUSED_PAD src0_sel:BYTE_0
	v_pk_fma_f16 v111, v113, v115, v111
	v_pack_b32_f16 v109, v109, v119
	v_pk_mul_f16 v109, v109, v114
	v_ashrrev_i32_e32 v114, v105, v116
	v_pk_fma_f16 v25, v109, v115, v25
	v_and_b32_e32 v114, 0xf0f0f0f, v114
	v_lshlrev_b16 v116, 8, v114
	v_and_b32_e32 v119, 0xf00, v114
	v_lshrrev_b32_e32 v114, 16, v114
	v_add_nc_u16 v116, 0xf800, v116
	v_or_b32_sdwa v116, v119, v116 dst_sel:DWORD dst_unused:UNUSED_PAD src0_sel:DWORD src1_sel:BYTE_1
	v_lshlrev_b16 v119, 8, v114
	v_and_b32_e32 v114, 0xf00, v114
	v_add_nc_u16 v116, 0xf800, v116
	v_add_nc_u16 v119, 0xf800, v119
	v_or_b32_sdwa v114, v114, v119 dst_sel:DWORD dst_unused:UNUSED_PAD src0_sel:DWORD src1_sel:BYTE_1
	v_lshrrev_b32_e32 v119, 8, v116
	v_cvt_f16_i16_sdwa v116, sext(v116) dst_sel:DWORD dst_unused:UNUSED_PAD src0_sel:BYTE_0
	v_add_nc_u16 v114, 0xf800, v114
	v_cvt_f16_i16_sdwa v119, sext(v119) dst_sel:DWORD dst_unused:UNUSED_PAD src0_sel:BYTE_0
	v_pack_b32_f16 v116, v116, v119
	v_lshrrev_b32_e32 v119, 8, v114
	v_cvt_f16_i16_sdwa v114, sext(v114) dst_sel:DWORD dst_unused:UNUSED_PAD src0_sel:BYTE_0
	v_pk_mul_f16 v116, v116, v108
	v_cvt_f16_i16_sdwa v119, sext(v119) dst_sel:DWORD dst_unused:UNUSED_PAD src0_sel:BYTE_0
	v_pk_fma_f16 v112, v116, v115, v112
	v_pack_b32_f16 v114, v114, v119
	buffer_load_dword v119, off, s[96:99], 0 offset:440 ; 4-byte Folded Reload
	v_pk_mul_f16 v108, v114, v108
	v_pk_fma_f16 v110, v108, v115, v110
	v_add_co_u32 v108, vcc_lo, v35, s8
	v_add_co_ci_u32_e64 v109, null, 0, v36, vcc_lo
	global_load_dword v113, v[108:109], off
	v_add_co_u32 v108, vcc_lo, v37, s8
	v_add_co_ci_u32_e64 v109, null, 0, v38, vcc_lo
	v_mov_b32_e32 v37, v34
	global_load_ushort v114, v[108:109], off
	v_add_co_u32 v108, vcc_lo, v31, s8
	v_add_co_ci_u32_e64 v109, null, 0, v32, vcc_lo
	global_load_dword v115, v[108:109], off
	v_add_co_u32 v108, vcc_lo, v33, s8
	v_add_co_ci_u32_e64 v109, null, 0, v34, vcc_lo
	v_mov_b32_e32 v34, v232
	global_load_ushort v108, v[108:109], off
	s_waitcnt vmcnt(3)
	v_ashrrev_i32_e32 v109, v105, v113
	v_and_b32_e32 v109, 0xf0f0f0f, v109
	s_waitcnt vmcnt(2)
	v_mul_u32_u24_e32 v114, 0x10001, v114
	v_lshlrev_b16 v113, 8, v109
	v_and_b32_e32 v116, 0xf00, v109
	v_lshrrev_b32_e32 v109, 16, v109
	v_add_nc_u16 v113, 0xf800, v113
	v_or_b32_sdwa v113, v116, v113 dst_sel:DWORD dst_unused:UNUSED_PAD src0_sel:DWORD src1_sel:BYTE_1
	v_lshlrev_b16 v116, 8, v109
	v_and_b32_e32 v109, 0xf00, v109
	s_waitcnt vmcnt(0)
	v_mul_u32_u24_e32 v108, 0x10001, v108
	v_add_nc_u16 v113, 0xf800, v113
	v_add_nc_u16 v116, 0xf800, v116
	v_or_b32_sdwa v109, v109, v116 dst_sel:DWORD dst_unused:UNUSED_PAD src0_sel:DWORD src1_sel:BYTE_1
	v_lshrrev_b32_e32 v116, 8, v113
	v_cvt_f16_i16_sdwa v113, sext(v113) dst_sel:DWORD dst_unused:UNUSED_PAD src0_sel:BYTE_0
	v_add_nc_u16 v109, 0xf800, v109
	v_cvt_f16_i16_sdwa v116, sext(v116) dst_sel:DWORD dst_unused:UNUSED_PAD src0_sel:BYTE_0
	v_pack_b32_f16 v113, v113, v116
	v_lshrrev_b32_e32 v116, 8, v109
	v_cvt_f16_i16_sdwa v109, sext(v109) dst_sel:DWORD dst_unused:UNUSED_PAD src0_sel:BYTE_0
	v_pk_mul_f16 v113, v113, v114
	v_cvt_f16_i16_sdwa v116, sext(v116) dst_sel:DWORD dst_unused:UNUSED_PAD src0_sel:BYTE_0
	v_pk_fma_f16 v111, v113, v117, v111
	v_pack_b32_f16 v109, v109, v116
	v_pk_mul_f16 v109, v109, v114
	v_ashrrev_i32_e32 v114, v105, v115
	v_pk_fma_f16 v25, v109, v117, v25
	v_and_b32_e32 v114, 0xf0f0f0f, v114
	v_lshlrev_b16 v115, 8, v114
	v_and_b32_e32 v116, 0xf00, v114
	v_lshrrev_b32_e32 v114, 16, v114
	v_add_nc_u16 v115, 0xf800, v115
	v_or_b32_sdwa v115, v116, v115 dst_sel:DWORD dst_unused:UNUSED_PAD src0_sel:DWORD src1_sel:BYTE_1
	v_lshlrev_b16 v116, 8, v114
	v_and_b32_e32 v114, 0xf00, v114
	v_add_nc_u16 v115, 0xf800, v115
	v_add_nc_u16 v116, 0xf800, v116
	v_or_b32_sdwa v114, v114, v116 dst_sel:DWORD dst_unused:UNUSED_PAD src0_sel:DWORD src1_sel:BYTE_1
	v_lshrrev_b32_e32 v116, 8, v115
	v_cvt_f16_i16_sdwa v115, sext(v115) dst_sel:DWORD dst_unused:UNUSED_PAD src0_sel:BYTE_0
	v_add_nc_u16 v114, 0xf800, v114
	v_cvt_f16_i16_sdwa v116, sext(v116) dst_sel:DWORD dst_unused:UNUSED_PAD src0_sel:BYTE_0
	v_pack_b32_f16 v115, v115, v116
	v_lshrrev_b32_e32 v116, 8, v114
	v_cvt_f16_i16_sdwa v114, sext(v114) dst_sel:DWORD dst_unused:UNUSED_PAD src0_sel:BYTE_0
	v_pk_mul_f16 v115, v115, v108
	v_cvt_f16_i16_sdwa v116, sext(v116) dst_sel:DWORD dst_unused:UNUSED_PAD src0_sel:BYTE_0
	v_pk_fma_f16 v112, v115, v117, v112
	v_pack_b32_f16 v114, v114, v116
	v_pk_mul_f16 v108, v114, v108
	v_pk_fma_f16 v110, v108, v117, v110
	v_add_co_u32 v108, vcc_lo, v27, s8
	v_add_co_ci_u32_e64 v109, null, 0, v28, vcc_lo
	buffer_load_dword v117, off, s[96:99], 0 offset:432 ; 4-byte Folded Reload
	global_load_dword v113, v[108:109], off
	v_add_co_u32 v108, vcc_lo, v29, s8
	v_add_co_ci_u32_e64 v109, null, 0, v30, vcc_lo
	global_load_ushort v114, v[108:109], off
	v_add_co_u32 v108, vcc_lo, v68, s8
	v_add_co_ci_u32_e64 v109, null, 0, v67, vcc_lo
	global_load_dword v115, v[108:109], off
	v_add_co_u32 v108, vcc_lo, v69, s8
	v_add_co_ci_u32_e64 v109, null, 0, v65, vcc_lo
	global_load_ushort v108, v[108:109], off
	s_waitcnt vmcnt(3)
	v_ashrrev_i32_e32 v109, v105, v113
	v_and_b32_e32 v109, 0xf0f0f0f, v109
	s_waitcnt vmcnt(2)
	v_mul_u32_u24_e32 v114, 0x10001, v114
	v_lshlrev_b16 v113, 8, v109
	v_and_b32_e32 v116, 0xf00, v109
	v_lshrrev_b32_e32 v109, 16, v109
	v_add_nc_u16 v113, 0xf800, v113
	v_or_b32_sdwa v113, v116, v113 dst_sel:DWORD dst_unused:UNUSED_PAD src0_sel:DWORD src1_sel:BYTE_1
	v_lshlrev_b16 v116, 8, v109
	v_and_b32_e32 v109, 0xf00, v109
	s_waitcnt vmcnt(0)
	v_mul_u32_u24_e32 v108, 0x10001, v108
	v_add_nc_u16 v113, 0xf800, v113
	v_add_nc_u16 v116, 0xf800, v116
	v_or_b32_sdwa v109, v109, v116 dst_sel:DWORD dst_unused:UNUSED_PAD src0_sel:DWORD src1_sel:BYTE_1
	v_lshrrev_b32_e32 v116, 8, v113
	v_cvt_f16_i16_sdwa v113, sext(v113) dst_sel:DWORD dst_unused:UNUSED_PAD src0_sel:BYTE_0
	v_add_nc_u16 v109, 0xf800, v109
	v_cvt_f16_i16_sdwa v116, sext(v116) dst_sel:DWORD dst_unused:UNUSED_PAD src0_sel:BYTE_0
	v_pack_b32_f16 v113, v113, v116
	v_lshrrev_b32_e32 v116, 8, v109
	v_cvt_f16_i16_sdwa v109, sext(v109) dst_sel:DWORD dst_unused:UNUSED_PAD src0_sel:BYTE_0
	v_pk_mul_f16 v113, v113, v114
	v_cvt_f16_i16_sdwa v116, sext(v116) dst_sel:DWORD dst_unused:UNUSED_PAD src0_sel:BYTE_0
	v_pk_fma_f16 v111, v113, v118, v111
	v_pack_b32_f16 v109, v109, v116
	v_pk_mul_f16 v109, v109, v114
	v_ashrrev_i32_e32 v114, v105, v115
	v_pk_fma_f16 v25, v109, v118, v25
	v_and_b32_e32 v114, 0xf0f0f0f, v114
	v_lshlrev_b16 v115, 8, v114
	v_and_b32_e32 v116, 0xf00, v114
	v_lshrrev_b32_e32 v114, 16, v114
	v_add_nc_u16 v115, 0xf800, v115
	v_or_b32_sdwa v115, v116, v115 dst_sel:DWORD dst_unused:UNUSED_PAD src0_sel:DWORD src1_sel:BYTE_1
	v_lshlrev_b16 v116, 8, v114
	v_and_b32_e32 v114, 0xf00, v114
	v_add_nc_u16 v115, 0xf800, v115
	v_add_nc_u16 v116, 0xf800, v116
	v_or_b32_sdwa v114, v114, v116 dst_sel:DWORD dst_unused:UNUSED_PAD src0_sel:DWORD src1_sel:BYTE_1
	v_lshrrev_b32_e32 v116, 8, v115
	v_cvt_f16_i16_sdwa v115, sext(v115) dst_sel:DWORD dst_unused:UNUSED_PAD src0_sel:BYTE_0
	v_add_nc_u16 v114, 0xf800, v114
	v_cvt_f16_i16_sdwa v116, sext(v116) dst_sel:DWORD dst_unused:UNUSED_PAD src0_sel:BYTE_0
	v_pack_b32_f16 v115, v115, v116
	v_lshrrev_b32_e32 v116, 8, v114
	v_cvt_f16_i16_sdwa v114, sext(v114) dst_sel:DWORD dst_unused:UNUSED_PAD src0_sel:BYTE_0
	v_pk_mul_f16 v115, v115, v108
	v_cvt_f16_i16_sdwa v116, sext(v116) dst_sel:DWORD dst_unused:UNUSED_PAD src0_sel:BYTE_0
	v_pk_fma_f16 v112, v115, v118, v112
	v_pack_b32_f16 v114, v114, v116
	v_pk_mul_f16 v108, v114, v108
	v_pk_fma_f16 v110, v108, v118, v110
	v_add_co_u32 v108, vcc_lo, v63, s8
	v_add_co_ci_u32_e64 v109, null, 0, v61, vcc_lo
	buffer_load_dword v118, off, s[96:99], 0 offset:436 ; 4-byte Folded Reload
	global_load_dword v113, v[108:109], off
	v_add_co_u32 v108, vcc_lo, v232, s8
	v_add_co_ci_u32_e64 v109, null, 0, v66, vcc_lo
	v_mov_b32_e32 v232, v228
	global_load_ushort v114, v[108:109], off
	v_add_co_u32 v108, vcc_lo, v64, s8
	v_add_co_ci_u32_e64 v109, null, 0, v60, vcc_lo
	v_mov_b32_e32 v60, v64
	v_mov_b32_e32 v64, v62
	global_load_dword v115, v[108:109], off
	v_add_co_u32 v108, vcc_lo, v229, s8
	v_add_co_ci_u32_e64 v109, null, 0, v231, vcc_lo
	s_clause 0x1
	buffer_load_dword v229, off, s[96:99], 0 offset:376
	buffer_load_dword v157, off, s[96:99], 0 offset:368
	global_load_ushort v108, v[108:109], off
	s_waitcnt vmcnt(5)
	v_ashrrev_i32_e32 v109, v105, v113
	v_and_b32_e32 v109, 0xf0f0f0f, v109
	s_waitcnt vmcnt(4)
	v_mul_u32_u24_e32 v114, 0x10001, v114
	v_lshlrev_b16 v113, 8, v109
	v_and_b32_e32 v116, 0xf00, v109
	v_lshrrev_b32_e32 v109, 16, v109
	v_add_nc_u16 v113, 0xf800, v113
	v_or_b32_sdwa v113, v116, v113 dst_sel:DWORD dst_unused:UNUSED_PAD src0_sel:DWORD src1_sel:BYTE_1
	v_lshlrev_b16 v116, 8, v109
	v_and_b32_e32 v109, 0xf00, v109
	s_waitcnt vmcnt(0)
	v_mul_u32_u24_e32 v108, 0x10001, v108
	v_add_nc_u16 v113, 0xf800, v113
	v_add_nc_u16 v116, 0xf800, v116
	v_or_b32_sdwa v109, v109, v116 dst_sel:DWORD dst_unused:UNUSED_PAD src0_sel:DWORD src1_sel:BYTE_1
	v_lshrrev_b32_e32 v116, 8, v113
	v_cvt_f16_i16_sdwa v113, sext(v113) dst_sel:DWORD dst_unused:UNUSED_PAD src0_sel:BYTE_0
	v_add_nc_u16 v109, 0xf800, v109
	v_cvt_f16_i16_sdwa v116, sext(v116) dst_sel:DWORD dst_unused:UNUSED_PAD src0_sel:BYTE_0
	v_pack_b32_f16 v113, v113, v116
	v_lshrrev_b32_e32 v116, 8, v109
	v_cvt_f16_i16_sdwa v109, sext(v109) dst_sel:DWORD dst_unused:UNUSED_PAD src0_sel:BYTE_0
	v_pk_mul_f16 v113, v113, v114
	v_cvt_f16_i16_sdwa v116, sext(v116) dst_sel:DWORD dst_unused:UNUSED_PAD src0_sel:BYTE_0
	v_pk_fma_f16 v111, v113, v134, v111
	v_pack_b32_f16 v109, v109, v116
	v_pk_mul_f16 v109, v109, v114
	v_ashrrev_i32_e32 v114, v105, v115
	v_pk_fma_f16 v25, v109, v134, v25
	v_and_b32_e32 v114, 0xf0f0f0f, v114
	v_lshlrev_b16 v115, 8, v114
	v_and_b32_e32 v116, 0xf00, v114
	v_lshrrev_b32_e32 v114, 16, v114
	v_add_nc_u16 v115, 0xf800, v115
	v_or_b32_sdwa v115, v116, v115 dst_sel:DWORD dst_unused:UNUSED_PAD src0_sel:DWORD src1_sel:BYTE_1
	v_lshlrev_b16 v116, 8, v114
	v_and_b32_e32 v114, 0xf00, v114
	v_add_nc_u16 v115, 0xf800, v115
	v_add_nc_u16 v116, 0xf800, v116
	v_or_b32_sdwa v114, v114, v116 dst_sel:DWORD dst_unused:UNUSED_PAD src0_sel:DWORD src1_sel:BYTE_1
	v_lshrrev_b32_e32 v116, 8, v115
	v_cvt_f16_i16_sdwa v115, sext(v115) dst_sel:DWORD dst_unused:UNUSED_PAD src0_sel:BYTE_0
	v_add_nc_u16 v114, 0xf800, v114
	v_cvt_f16_i16_sdwa v116, sext(v116) dst_sel:DWORD dst_unused:UNUSED_PAD src0_sel:BYTE_0
	v_pack_b32_f16 v115, v115, v116
	v_lshrrev_b32_e32 v116, 8, v114
	v_cvt_f16_i16_sdwa v114, sext(v114) dst_sel:DWORD dst_unused:UNUSED_PAD src0_sel:BYTE_0
	v_pk_mul_f16 v115, v115, v108
	v_cvt_f16_i16_sdwa v116, sext(v116) dst_sel:DWORD dst_unused:UNUSED_PAD src0_sel:BYTE_0
	v_pk_fma_f16 v112, v115, v134, v112
	v_pack_b32_f16 v114, v114, v116
	v_pk_mul_f16 v108, v114, v108
	v_pk_fma_f16 v110, v108, v134, v110
	v_add_co_u32 v108, vcc_lo, v253, s8
	v_add_co_ci_u32_e64 v109, null, 0, v254, vcc_lo
	buffer_load_dword v134, off, s[96:99], 0 offset:492 ; 4-byte Folded Reload
	global_load_dword v113, v[108:109], off
	v_add_co_u32 v108, vcc_lo, v255, s8
	v_add_co_ci_u32_e64 v109, null, 0, v62, vcc_lo
	v_mov_b32_e32 v62, v233
	global_load_ushort v114, v[108:109], off
	v_add_co_u32 v108, vcc_lo, v249, s8
	v_add_co_ci_u32_e64 v109, null, 0, v250, vcc_lo
	global_load_dword v115, v[108:109], off
	v_add_co_u32 v108, vcc_lo, v251, s8
	v_add_co_ci_u32_e64 v109, null, 0, v252, vcc_lo
	global_load_ushort v108, v[108:109], off
	s_waitcnt vmcnt(3)
	v_ashrrev_i32_e32 v109, v105, v113
	v_and_b32_e32 v109, 0xf0f0f0f, v109
	s_waitcnt vmcnt(2)
	v_mul_u32_u24_e32 v114, 0x10001, v114
	v_lshlrev_b16 v113, 8, v109
	v_and_b32_e32 v116, 0xf00, v109
	v_lshrrev_b32_e32 v109, 16, v109
	v_add_nc_u16 v113, 0xf800, v113
	v_or_b32_sdwa v113, v116, v113 dst_sel:DWORD dst_unused:UNUSED_PAD src0_sel:DWORD src1_sel:BYTE_1
	v_lshlrev_b16 v116, 8, v109
	v_and_b32_e32 v109, 0xf00, v109
	s_waitcnt vmcnt(0)
	v_mul_u32_u24_e32 v108, 0x10001, v108
	v_add_nc_u16 v113, 0xf800, v113
	v_add_nc_u16 v116, 0xf800, v116
	v_or_b32_sdwa v109, v109, v116 dst_sel:DWORD dst_unused:UNUSED_PAD src0_sel:DWORD src1_sel:BYTE_1
	v_lshrrev_b32_e32 v116, 8, v113
	v_cvt_f16_i16_sdwa v113, sext(v113) dst_sel:DWORD dst_unused:UNUSED_PAD src0_sel:BYTE_0
	v_add_nc_u16 v109, 0xf800, v109
	v_cvt_f16_i16_sdwa v116, sext(v116) dst_sel:DWORD dst_unused:UNUSED_PAD src0_sel:BYTE_0
	v_pack_b32_f16 v113, v113, v116
	v_lshrrev_b32_e32 v116, 8, v109
	v_cvt_f16_i16_sdwa v109, sext(v109) dst_sel:DWORD dst_unused:UNUSED_PAD src0_sel:BYTE_0
	v_pk_mul_f16 v113, v113, v114
	v_cvt_f16_i16_sdwa v116, sext(v116) dst_sel:DWORD dst_unused:UNUSED_PAD src0_sel:BYTE_0
	v_pk_fma_f16 v111, v113, v132, v111
	v_pack_b32_f16 v109, v109, v116
	v_pk_mul_f16 v109, v109, v114
	v_ashrrev_i32_e32 v114, v105, v115
	v_pk_fma_f16 v25, v109, v132, v25
	v_and_b32_e32 v114, 0xf0f0f0f, v114
	v_lshlrev_b16 v115, 8, v114
	v_and_b32_e32 v116, 0xf00, v114
	v_lshrrev_b32_e32 v114, 16, v114
	v_add_nc_u16 v115, 0xf800, v115
	v_or_b32_sdwa v115, v116, v115 dst_sel:DWORD dst_unused:UNUSED_PAD src0_sel:DWORD src1_sel:BYTE_1
	v_lshlrev_b16 v116, 8, v114
	v_and_b32_e32 v114, 0xf00, v114
	v_add_nc_u16 v115, 0xf800, v115
	v_add_nc_u16 v116, 0xf800, v116
	v_or_b32_sdwa v114, v114, v116 dst_sel:DWORD dst_unused:UNUSED_PAD src0_sel:DWORD src1_sel:BYTE_1
	v_lshrrev_b32_e32 v116, 8, v115
	v_cvt_f16_i16_sdwa v115, sext(v115) dst_sel:DWORD dst_unused:UNUSED_PAD src0_sel:BYTE_0
	v_add_nc_u16 v114, 0xf800, v114
	v_cvt_f16_i16_sdwa v116, sext(v116) dst_sel:DWORD dst_unused:UNUSED_PAD src0_sel:BYTE_0
	v_pack_b32_f16 v115, v115, v116
	v_lshrrev_b32_e32 v116, 8, v114
	v_cvt_f16_i16_sdwa v114, sext(v114) dst_sel:DWORD dst_unused:UNUSED_PAD src0_sel:BYTE_0
	v_pk_mul_f16 v115, v115, v108
	v_cvt_f16_i16_sdwa v116, sext(v116) dst_sel:DWORD dst_unused:UNUSED_PAD src0_sel:BYTE_0
	v_pk_fma_f16 v112, v115, v132, v112
	v_pack_b32_f16 v114, v114, v116
	v_pk_mul_f16 v108, v114, v108
	v_pk_fma_f16 v110, v108, v132, v110
	v_add_co_u32 v108, vcc_lo, v245, s8
	v_add_co_ci_u32_e64 v109, null, 0, v246, vcc_lo
	buffer_load_dword v132, off, s[96:99], 0 offset:488 ; 4-byte Folded Reload
	global_load_dword v113, v[108:109], off
	v_add_co_u32 v108, vcc_lo, v247, s8
	v_add_co_ci_u32_e64 v109, null, 0, v248, vcc_lo
	global_load_ushort v114, v[108:109], off
	v_add_co_u32 v108, vcc_lo, v241, s8
	v_add_co_ci_u32_e64 v109, null, 0, v242, vcc_lo
	global_load_dword v115, v[108:109], off
	v_add_co_u32 v108, vcc_lo, v243, s8
	v_add_co_ci_u32_e64 v109, null, 0, v244, vcc_lo
	global_load_ushort v108, v[108:109], off
	s_waitcnt vmcnt(3)
	v_ashrrev_i32_e32 v109, v105, v113
	v_and_b32_e32 v109, 0xf0f0f0f, v109
	s_waitcnt vmcnt(2)
	v_mul_u32_u24_e32 v114, 0x10001, v114
	v_lshlrev_b16 v113, 8, v109
	v_and_b32_e32 v116, 0xf00, v109
	v_lshrrev_b32_e32 v109, 16, v109
	v_add_nc_u16 v113, 0xf800, v113
	v_or_b32_sdwa v113, v116, v113 dst_sel:DWORD dst_unused:UNUSED_PAD src0_sel:DWORD src1_sel:BYTE_1
	v_lshlrev_b16 v116, 8, v109
	v_and_b32_e32 v109, 0xf00, v109
	s_waitcnt vmcnt(0)
	v_mul_u32_u24_e32 v108, 0x10001, v108
	v_add_nc_u16 v113, 0xf800, v113
	v_add_nc_u16 v116, 0xf800, v116
	v_or_b32_sdwa v109, v109, v116 dst_sel:DWORD dst_unused:UNUSED_PAD src0_sel:DWORD src1_sel:BYTE_1
	v_lshrrev_b32_e32 v116, 8, v113
	v_cvt_f16_i16_sdwa v113, sext(v113) dst_sel:DWORD dst_unused:UNUSED_PAD src0_sel:BYTE_0
	v_add_nc_u16 v109, 0xf800, v109
	v_cvt_f16_i16_sdwa v116, sext(v116) dst_sel:DWORD dst_unused:UNUSED_PAD src0_sel:BYTE_0
	v_pack_b32_f16 v113, v113, v116
	v_lshrrev_b32_e32 v116, 8, v109
	v_cvt_f16_i16_sdwa v109, sext(v109) dst_sel:DWORD dst_unused:UNUSED_PAD src0_sel:BYTE_0
	v_pk_mul_f16 v113, v113, v114
	v_cvt_f16_i16_sdwa v116, sext(v116) dst_sel:DWORD dst_unused:UNUSED_PAD src0_sel:BYTE_0
	v_pk_fma_f16 v111, v113, v131, v111
	v_pack_b32_f16 v109, v109, v116
	v_pk_mul_f16 v109, v109, v114
	v_ashrrev_i32_e32 v114, v105, v115
	v_pk_fma_f16 v25, v109, v131, v25
	v_and_b32_e32 v114, 0xf0f0f0f, v114
	v_lshlrev_b16 v115, 8, v114
	v_and_b32_e32 v116, 0xf00, v114
	v_lshrrev_b32_e32 v114, 16, v114
	v_add_nc_u16 v115, 0xf800, v115
	v_or_b32_sdwa v115, v116, v115 dst_sel:DWORD dst_unused:UNUSED_PAD src0_sel:DWORD src1_sel:BYTE_1
	v_lshlrev_b16 v116, 8, v114
	v_and_b32_e32 v114, 0xf00, v114
	v_add_nc_u16 v115, 0xf800, v115
	v_add_nc_u16 v116, 0xf800, v116
	v_or_b32_sdwa v114, v114, v116 dst_sel:DWORD dst_unused:UNUSED_PAD src0_sel:DWORD src1_sel:BYTE_1
	v_lshrrev_b32_e32 v116, 8, v115
	v_cvt_f16_i16_sdwa v115, sext(v115) dst_sel:DWORD dst_unused:UNUSED_PAD src0_sel:BYTE_0
	v_add_nc_u16 v114, 0xf800, v114
	v_cvt_f16_i16_sdwa v116, sext(v116) dst_sel:DWORD dst_unused:UNUSED_PAD src0_sel:BYTE_0
	v_pack_b32_f16 v115, v115, v116
	v_lshrrev_b32_e32 v116, 8, v114
	v_cvt_f16_i16_sdwa v114, sext(v114) dst_sel:DWORD dst_unused:UNUSED_PAD src0_sel:BYTE_0
	v_pk_mul_f16 v115, v115, v108
	v_cvt_f16_i16_sdwa v116, sext(v116) dst_sel:DWORD dst_unused:UNUSED_PAD src0_sel:BYTE_0
	v_pk_fma_f16 v112, v115, v131, v112
	v_pack_b32_f16 v114, v114, v116
	v_pk_mul_f16 v108, v114, v108
	v_pk_fma_f16 v110, v108, v131, v110
	v_add_co_u32 v108, vcc_lo, v237, s8
	v_add_co_ci_u32_e64 v109, null, 0, v238, vcc_lo
	buffer_load_dword v131, off, s[96:99], 0 offset:484 ; 4-byte Folded Reload
	global_load_dword v113, v[108:109], off
	v_add_co_u32 v108, vcc_lo, v239, s8
	v_add_co_ci_u32_e64 v109, null, 0, v240, vcc_lo
	global_load_ushort v114, v[108:109], off
	v_add_co_u32 v108, vcc_lo, v233, s8
	v_add_co_ci_u32_e64 v109, null, 0, v234, vcc_lo
	v_mov_b32_e32 v233, v226
	global_load_dword v115, v[108:109], off
	v_add_co_u32 v108, vcc_lo, v235, s8
	v_add_co_ci_u32_e64 v109, null, 0, v236, vcc_lo
	global_load_ushort v108, v[108:109], off
	s_waitcnt vmcnt(3)
	v_ashrrev_i32_e32 v109, v105, v113
	v_and_b32_e32 v109, 0xf0f0f0f, v109
	s_waitcnt vmcnt(2)
	v_mul_u32_u24_e32 v114, 0x10001, v114
	v_lshlrev_b16 v113, 8, v109
	v_and_b32_e32 v116, 0xf00, v109
	v_lshrrev_b32_e32 v109, 16, v109
	v_add_nc_u16 v113, 0xf800, v113
	v_or_b32_sdwa v113, v116, v113 dst_sel:DWORD dst_unused:UNUSED_PAD src0_sel:DWORD src1_sel:BYTE_1
	v_lshlrev_b16 v116, 8, v109
	v_and_b32_e32 v109, 0xf00, v109
	s_waitcnt vmcnt(0)
	v_mul_u32_u24_e32 v108, 0x10001, v108
	v_add_nc_u16 v113, 0xf800, v113
	v_add_nc_u16 v116, 0xf800, v116
	v_or_b32_sdwa v109, v109, v116 dst_sel:DWORD dst_unused:UNUSED_PAD src0_sel:DWORD src1_sel:BYTE_1
	v_lshrrev_b32_e32 v116, 8, v113
	v_cvt_f16_i16_sdwa v113, sext(v113) dst_sel:DWORD dst_unused:UNUSED_PAD src0_sel:BYTE_0
	v_add_nc_u16 v109, 0xf800, v109
	v_cvt_f16_i16_sdwa v116, sext(v116) dst_sel:DWORD dst_unused:UNUSED_PAD src0_sel:BYTE_0
	v_pack_b32_f16 v113, v113, v116
	v_lshrrev_b32_e32 v116, 8, v109
	v_cvt_f16_i16_sdwa v109, sext(v109) dst_sel:DWORD dst_unused:UNUSED_PAD src0_sel:BYTE_0
	v_pk_mul_f16 v113, v113, v114
	v_cvt_f16_i16_sdwa v116, sext(v116) dst_sel:DWORD dst_unused:UNUSED_PAD src0_sel:BYTE_0
	v_pk_fma_f16 v111, v113, v129, v111
	v_pack_b32_f16 v109, v109, v116
	v_pk_mul_f16 v109, v109, v114
	v_ashrrev_i32_e32 v114, v105, v115
	v_pk_fma_f16 v25, v109, v129, v25
	v_and_b32_e32 v114, 0xf0f0f0f, v114
	v_lshlrev_b16 v115, 8, v114
	v_and_b32_e32 v116, 0xf00, v114
	v_lshrrev_b32_e32 v114, 16, v114
	v_add_nc_u16 v115, 0xf800, v115
	v_or_b32_sdwa v115, v116, v115 dst_sel:DWORD dst_unused:UNUSED_PAD src0_sel:DWORD src1_sel:BYTE_1
	v_lshlrev_b16 v116, 8, v114
	v_and_b32_e32 v114, 0xf00, v114
	v_add_nc_u16 v115, 0xf800, v115
	v_add_nc_u16 v116, 0xf800, v116
	v_or_b32_sdwa v114, v114, v116 dst_sel:DWORD dst_unused:UNUSED_PAD src0_sel:DWORD src1_sel:BYTE_1
	v_lshrrev_b32_e32 v116, 8, v115
	v_cvt_f16_i16_sdwa v115, sext(v115) dst_sel:DWORD dst_unused:UNUSED_PAD src0_sel:BYTE_0
	v_add_nc_u16 v114, 0xf800, v114
	v_cvt_f16_i16_sdwa v116, sext(v116) dst_sel:DWORD dst_unused:UNUSED_PAD src0_sel:BYTE_0
	v_pack_b32_f16 v115, v115, v116
	v_lshrrev_b32_e32 v116, 8, v114
	v_cvt_f16_i16_sdwa v114, sext(v114) dst_sel:DWORD dst_unused:UNUSED_PAD src0_sel:BYTE_0
	v_pk_mul_f16 v115, v115, v108
	v_cvt_f16_i16_sdwa v116, sext(v116) dst_sel:DWORD dst_unused:UNUSED_PAD src0_sel:BYTE_0
	v_pk_fma_f16 v112, v115, v129, v112
	v_pack_b32_f16 v114, v114, v116
	v_pk_mul_f16 v108, v114, v108
	v_pk_fma_f16 v110, v108, v129, v110
	v_add_co_u32 v108, vcc_lo, v228, s8
	buffer_load_dword v228, off, s[96:99], 0 offset:372 ; 4-byte Folded Reload
	v_add_co_ci_u32_e64 v109, null, 0, v217, vcc_lo
	buffer_load_dword v129, off, s[96:99], 0 offset:476 ; 4-byte Folded Reload
	global_load_dword v113, v[108:109], off
	v_add_co_u32 v108, vcc_lo, v230, s8
	v_add_co_ci_u32_e64 v109, null, 0, v227, vcc_lo
	global_load_ushort v114, v[108:109], off
	v_add_co_u32 v108, vcc_lo, v225, s8
	v_add_co_ci_u32_e64 v109, null, 0, v226, vcc_lo
	v_mov_b32_e32 v226, v225
	v_mov_b32_e32 v225, v224
	global_load_dword v115, v[108:109], off
	s_waitcnt vmcnt(4)
	v_add_co_u32 v108, vcc_lo, v228, s8
	v_add_co_ci_u32_e64 v109, null, 0, v229, vcc_lo
	global_load_ushort v108, v[108:109], off
	s_waitcnt vmcnt(3)
	v_ashrrev_i32_e32 v109, v105, v113
	v_and_b32_e32 v109, 0xf0f0f0f, v109
	s_waitcnt vmcnt(2)
	v_mul_u32_u24_e32 v114, 0x10001, v114
	v_lshlrev_b16 v113, 8, v109
	v_and_b32_e32 v116, 0xf00, v109
	v_lshrrev_b32_e32 v109, 16, v109
	v_add_nc_u16 v113, 0xf800, v113
	v_or_b32_sdwa v113, v116, v113 dst_sel:DWORD dst_unused:UNUSED_PAD src0_sel:DWORD src1_sel:BYTE_1
	v_lshlrev_b16 v116, 8, v109
	v_and_b32_e32 v109, 0xf00, v109
	v_add_nc_u16 v113, 0xf800, v113
	v_add_nc_u16 v116, 0xf800, v116
	v_or_b32_sdwa v109, v109, v116 dst_sel:DWORD dst_unused:UNUSED_PAD src0_sel:DWORD src1_sel:BYTE_1
	v_lshrrev_b32_e32 v116, 8, v113
	v_cvt_f16_i16_sdwa v113, sext(v113) dst_sel:DWORD dst_unused:UNUSED_PAD src0_sel:BYTE_0
	v_add_nc_u16 v109, 0xf800, v109
	v_cvt_f16_i16_sdwa v116, sext(v116) dst_sel:DWORD dst_unused:UNUSED_PAD src0_sel:BYTE_0
	v_pack_b32_f16 v113, v113, v116
	v_lshrrev_b32_e32 v116, 8, v109
	v_cvt_f16_i16_sdwa v109, sext(v109) dst_sel:DWORD dst_unused:UNUSED_PAD src0_sel:BYTE_0
	v_pk_mul_f16 v113, v113, v114
	v_cvt_f16_i16_sdwa v116, sext(v116) dst_sel:DWORD dst_unused:UNUSED_PAD src0_sel:BYTE_0
	v_pk_fma_f16 v111, v113, v127, v111
	v_pack_b32_f16 v109, v109, v116
	v_pk_mul_f16 v109, v109, v114
	s_waitcnt vmcnt(1)
	v_ashrrev_i32_e32 v114, v105, v115
	v_pk_fma_f16 v25, v109, v127, v25
	v_and_b32_e32 v114, 0xf0f0f0f, v114
	v_lshlrev_b16 v115, 8, v114
	v_and_b32_e32 v116, 0xf00, v114
	v_lshrrev_b32_e32 v114, 16, v114
	v_add_nc_u16 v115, 0xf800, v115
	v_or_b32_sdwa v115, v116, v115 dst_sel:DWORD dst_unused:UNUSED_PAD src0_sel:DWORD src1_sel:BYTE_1
	v_lshlrev_b16 v116, 8, v114
	v_and_b32_e32 v114, 0xf00, v114
	v_add_nc_u16 v115, 0xf800, v115
	v_add_nc_u16 v116, 0xf800, v116
	v_or_b32_sdwa v114, v114, v116 dst_sel:DWORD dst_unused:UNUSED_PAD src0_sel:DWORD src1_sel:BYTE_1
	v_lshrrev_b32_e32 v116, 8, v115
	v_cvt_f16_i16_sdwa v115, sext(v115) dst_sel:DWORD dst_unused:UNUSED_PAD src0_sel:BYTE_0
	v_add_nc_u16 v114, 0xf800, v114
	v_cvt_f16_i16_sdwa v116, sext(v116) dst_sel:DWORD dst_unused:UNUSED_PAD src0_sel:BYTE_0
	v_pack_b32_f16 v115, v115, v116
	v_lshrrev_b32_e32 v116, 8, v114
	v_cvt_f16_i16_sdwa v114, sext(v114) dst_sel:DWORD dst_unused:UNUSED_PAD src0_sel:BYTE_0
	v_cvt_f16_i16_sdwa v116, sext(v116) dst_sel:DWORD dst_unused:UNUSED_PAD src0_sel:BYTE_0
	v_pack_b32_f16 v114, v114, v116
	s_waitcnt vmcnt(0)
	v_mul_u32_u24_e32 v108, 0x10001, v108
	v_pk_mul_f16 v115, v115, v108
	v_pk_mul_f16 v108, v114, v108
	v_pk_fma_f16 v112, v115, v127, v112
	v_pk_fma_f16 v110, v108, v127, v110
	v_add_co_u32 v108, vcc_lo, v223, s8
	v_add_co_ci_u32_e64 v109, null, 0, v156, vcc_lo
	buffer_load_dword v127, off, s[96:99], 0 offset:468 ; 4-byte Folded Reload
	global_load_dword v113, v[108:109], off
	v_add_co_u32 v108, vcc_lo, v157, s8
	v_add_co_ci_u32_e64 v109, null, 0, v224, vcc_lo
	v_mov_b32_e32 v224, v192
	global_load_ushort v114, v[108:109], off
	v_add_co_u32 v108, vcc_lo, v219, s8
	v_add_co_ci_u32_e64 v109, null, 0, v154, vcc_lo
	global_load_dword v115, v[108:109], off
	v_add_co_u32 v108, vcc_lo, v220, s8
	v_add_co_ci_u32_e64 v109, null, 0, v155, vcc_lo
	global_load_ushort v108, v[108:109], off
	s_waitcnt vmcnt(3)
	v_ashrrev_i32_e32 v109, v105, v113
	v_and_b32_e32 v109, 0xf0f0f0f, v109
	s_waitcnt vmcnt(2)
	v_mul_u32_u24_e32 v114, 0x10001, v114
	v_lshlrev_b16 v113, 8, v109
	v_and_b32_e32 v116, 0xf00, v109
	v_lshrrev_b32_e32 v109, 16, v109
	v_add_nc_u16 v113, 0xf800, v113
	v_or_b32_sdwa v113, v116, v113 dst_sel:DWORD dst_unused:UNUSED_PAD src0_sel:DWORD src1_sel:BYTE_1
	v_lshlrev_b16 v116, 8, v109
	v_and_b32_e32 v109, 0xf00, v109
	s_waitcnt vmcnt(0)
	v_mul_u32_u24_e32 v108, 0x10001, v108
	v_add_nc_u16 v113, 0xf800, v113
	v_add_nc_u16 v116, 0xf800, v116
	v_or_b32_sdwa v109, v109, v116 dst_sel:DWORD dst_unused:UNUSED_PAD src0_sel:DWORD src1_sel:BYTE_1
	v_lshrrev_b32_e32 v116, 8, v113
	v_cvt_f16_i16_sdwa v113, sext(v113) dst_sel:DWORD dst_unused:UNUSED_PAD src0_sel:BYTE_0
	v_add_nc_u16 v109, 0xf800, v109
	v_cvt_f16_i16_sdwa v116, sext(v116) dst_sel:DWORD dst_unused:UNUSED_PAD src0_sel:BYTE_0
	v_pack_b32_f16 v113, v113, v116
	v_lshrrev_b32_e32 v116, 8, v109
	v_cvt_f16_i16_sdwa v109, sext(v109) dst_sel:DWORD dst_unused:UNUSED_PAD src0_sel:BYTE_0
	v_pk_mul_f16 v113, v113, v114
	v_cvt_f16_i16_sdwa v116, sext(v116) dst_sel:DWORD dst_unused:UNUSED_PAD src0_sel:BYTE_0
	v_pk_fma_f16 v111, v113, v125, v111
	v_pack_b32_f16 v109, v109, v116
	v_pk_mul_f16 v109, v109, v114
	v_ashrrev_i32_e32 v114, v105, v115
	v_pk_fma_f16 v25, v109, v125, v25
	v_and_b32_e32 v114, 0xf0f0f0f, v114
	v_lshlrev_b16 v115, 8, v114
	v_and_b32_e32 v116, 0xf00, v114
	v_lshrrev_b32_e32 v114, 16, v114
	v_add_nc_u16 v115, 0xf800, v115
	v_or_b32_sdwa v115, v116, v115 dst_sel:DWORD dst_unused:UNUSED_PAD src0_sel:DWORD src1_sel:BYTE_1
	v_lshlrev_b16 v116, 8, v114
	v_and_b32_e32 v114, 0xf00, v114
	v_add_nc_u16 v115, 0xf800, v115
	v_add_nc_u16 v116, 0xf800, v116
	v_or_b32_sdwa v114, v114, v116 dst_sel:DWORD dst_unused:UNUSED_PAD src0_sel:DWORD src1_sel:BYTE_1
	v_lshrrev_b32_e32 v116, 8, v115
	v_cvt_f16_i16_sdwa v115, sext(v115) dst_sel:DWORD dst_unused:UNUSED_PAD src0_sel:BYTE_0
	v_add_nc_u16 v114, 0xf800, v114
	v_cvt_f16_i16_sdwa v116, sext(v116) dst_sel:DWORD dst_unused:UNUSED_PAD src0_sel:BYTE_0
	v_pack_b32_f16 v115, v115, v116
	v_lshrrev_b32_e32 v116, 8, v114
	v_cvt_f16_i16_sdwa v114, sext(v114) dst_sel:DWORD dst_unused:UNUSED_PAD src0_sel:BYTE_0
	v_pk_mul_f16 v115, v115, v108
	v_cvt_f16_i16_sdwa v116, sext(v116) dst_sel:DWORD dst_unused:UNUSED_PAD src0_sel:BYTE_0
	v_pk_fma_f16 v112, v115, v125, v112
	v_pack_b32_f16 v114, v114, v116
	v_pk_mul_f16 v108, v114, v108
	v_pk_fma_f16 v110, v108, v125, v110
	v_add_co_u32 v108, vcc_lo, v215, s8
	v_add_co_ci_u32_e64 v109, null, 0, v152, vcc_lo
	buffer_load_dword v125, off, s[96:99], 0 offset:460 ; 4-byte Folded Reload
	global_load_dword v113, v[108:109], off
	v_add_co_u32 v108, vcc_lo, v209, s8
	v_add_co_ci_u32_e64 v109, null, 0, v153, vcc_lo
	global_load_ushort v114, v[108:109], off
	v_add_co_u32 v108, vcc_lo, v211, s8
	v_add_co_ci_u32_e64 v109, null, 0, v150, vcc_lo
	global_load_dword v115, v[108:109], off
	v_add_co_u32 v108, vcc_lo, v212, s8
	v_add_co_ci_u32_e64 v109, null, 0, v151, vcc_lo
	global_load_ushort v108, v[108:109], off
	s_waitcnt vmcnt(3)
	v_ashrrev_i32_e32 v109, v105, v113
	v_and_b32_e32 v109, 0xf0f0f0f, v109
	s_waitcnt vmcnt(2)
	v_mul_u32_u24_e32 v114, 0x10001, v114
	v_lshlrev_b16 v113, 8, v109
	v_and_b32_e32 v116, 0xf00, v109
	v_lshrrev_b32_e32 v109, 16, v109
	v_add_nc_u16 v113, 0xf800, v113
	v_or_b32_sdwa v113, v116, v113 dst_sel:DWORD dst_unused:UNUSED_PAD src0_sel:DWORD src1_sel:BYTE_1
	v_lshlrev_b16 v116, 8, v109
	v_and_b32_e32 v109, 0xf00, v109
	s_waitcnt vmcnt(0)
	v_mul_u32_u24_e32 v108, 0x10001, v108
	v_add_nc_u16 v113, 0xf800, v113
	v_add_nc_u16 v116, 0xf800, v116
	v_or_b32_sdwa v109, v109, v116 dst_sel:DWORD dst_unused:UNUSED_PAD src0_sel:DWORD src1_sel:BYTE_1
	v_lshrrev_b32_e32 v116, 8, v113
	v_cvt_f16_i16_sdwa v113, sext(v113) dst_sel:DWORD dst_unused:UNUSED_PAD src0_sel:BYTE_0
	v_add_nc_u16 v109, 0xf800, v109
	v_cvt_f16_i16_sdwa v116, sext(v116) dst_sel:DWORD dst_unused:UNUSED_PAD src0_sel:BYTE_0
	v_pack_b32_f16 v113, v113, v116
	v_lshrrev_b32_e32 v116, 8, v109
	v_cvt_f16_i16_sdwa v109, sext(v109) dst_sel:DWORD dst_unused:UNUSED_PAD src0_sel:BYTE_0
	v_pk_mul_f16 v113, v113, v114
	v_cvt_f16_i16_sdwa v116, sext(v116) dst_sel:DWORD dst_unused:UNUSED_PAD src0_sel:BYTE_0
	v_pk_fma_f16 v111, v113, v122, v111
	v_pack_b32_f16 v109, v109, v116
	v_pk_mul_f16 v109, v109, v114
	v_ashrrev_i32_e32 v114, v105, v115
	v_pk_fma_f16 v25, v109, v122, v25
	v_and_b32_e32 v114, 0xf0f0f0f, v114
	v_lshlrev_b16 v115, 8, v114
	v_and_b32_e32 v116, 0xf00, v114
	v_lshrrev_b32_e32 v114, 16, v114
	v_add_nc_u16 v115, 0xf800, v115
	v_or_b32_sdwa v115, v116, v115 dst_sel:DWORD dst_unused:UNUSED_PAD src0_sel:DWORD src1_sel:BYTE_1
	v_lshlrev_b16 v116, 8, v114
	v_and_b32_e32 v114, 0xf00, v114
	v_add_nc_u16 v115, 0xf800, v115
	v_add_nc_u16 v116, 0xf800, v116
	v_or_b32_sdwa v114, v114, v116 dst_sel:DWORD dst_unused:UNUSED_PAD src0_sel:DWORD src1_sel:BYTE_1
	v_lshrrev_b32_e32 v116, 8, v115
	v_cvt_f16_i16_sdwa v115, sext(v115) dst_sel:DWORD dst_unused:UNUSED_PAD src0_sel:BYTE_0
	v_add_nc_u16 v114, 0xf800, v114
	v_cvt_f16_i16_sdwa v116, sext(v116) dst_sel:DWORD dst_unused:UNUSED_PAD src0_sel:BYTE_0
	v_pack_b32_f16 v115, v115, v116
	v_lshrrev_b32_e32 v116, 8, v114
	v_cvt_f16_i16_sdwa v114, sext(v114) dst_sel:DWORD dst_unused:UNUSED_PAD src0_sel:BYTE_0
	v_pk_mul_f16 v115, v115, v108
	v_cvt_f16_i16_sdwa v116, sext(v116) dst_sel:DWORD dst_unused:UNUSED_PAD src0_sel:BYTE_0
	v_pk_fma_f16 v112, v115, v122, v112
	v_pack_b32_f16 v114, v114, v116
	v_pk_mul_f16 v108, v114, v108
	v_pk_fma_f16 v110, v108, v122, v110
	v_add_co_u32 v108, vcc_lo, v207, s8
	v_add_co_ci_u32_e64 v109, null, 0, v148, vcc_lo
	buffer_load_dword v122, off, s[96:99], 0 offset:452 ; 4-byte Folded Reload
	global_load_dword v113, v[108:109], off
	v_add_co_u32 v108, vcc_lo, v201, s8
	v_add_co_ci_u32_e64 v109, null, 0, v149, vcc_lo
	global_load_ushort v114, v[108:109], off
	v_add_co_u32 v108, vcc_lo, v203, s8
	v_add_co_ci_u32_e64 v109, null, 0, v146, vcc_lo
	global_load_dword v115, v[108:109], off
	v_add_co_u32 v108, vcc_lo, v204, s8
	v_add_co_ci_u32_e64 v109, null, 0, v147, vcc_lo
	global_load_ushort v108, v[108:109], off
	s_waitcnt vmcnt(3)
	v_ashrrev_i32_e32 v109, v105, v113
	v_and_b32_e32 v109, 0xf0f0f0f, v109
	s_waitcnt vmcnt(2)
	v_mul_u32_u24_e32 v114, 0x10001, v114
	v_lshlrev_b16 v113, 8, v109
	v_and_b32_e32 v116, 0xf00, v109
	v_lshrrev_b32_e32 v109, 16, v109
	v_add_nc_u16 v113, 0xf800, v113
	v_or_b32_sdwa v113, v116, v113 dst_sel:DWORD dst_unused:UNUSED_PAD src0_sel:DWORD src1_sel:BYTE_1
	v_lshlrev_b16 v116, 8, v109
	v_and_b32_e32 v109, 0xf00, v109
	s_waitcnt vmcnt(0)
	v_mul_u32_u24_e32 v108, 0x10001, v108
	v_add_nc_u16 v113, 0xf800, v113
	v_add_nc_u16 v116, 0xf800, v116
	v_or_b32_sdwa v109, v109, v116 dst_sel:DWORD dst_unused:UNUSED_PAD src0_sel:DWORD src1_sel:BYTE_1
	v_lshrrev_b32_e32 v116, 8, v113
	v_cvt_f16_i16_sdwa v113, sext(v113) dst_sel:DWORD dst_unused:UNUSED_PAD src0_sel:BYTE_0
	v_add_nc_u16 v109, 0xf800, v109
	v_cvt_f16_i16_sdwa v116, sext(v116) dst_sel:DWORD dst_unused:UNUSED_PAD src0_sel:BYTE_0
	v_pack_b32_f16 v113, v113, v116
	v_lshrrev_b32_e32 v116, 8, v109
	v_cvt_f16_i16_sdwa v109, sext(v109) dst_sel:DWORD dst_unused:UNUSED_PAD src0_sel:BYTE_0
	v_pk_mul_f16 v113, v113, v114
	v_cvt_f16_i16_sdwa v116, sext(v116) dst_sel:DWORD dst_unused:UNUSED_PAD src0_sel:BYTE_0
	v_pk_fma_f16 v111, v113, v18, v111
	v_pack_b32_f16 v109, v109, v116
	v_pk_mul_f16 v109, v109, v114
	v_ashrrev_i32_e32 v114, v105, v115
	v_pk_fma_f16 v25, v109, v18, v25
	v_and_b32_e32 v114, 0xf0f0f0f, v114
	v_lshlrev_b16 v115, 8, v114
	v_and_b32_e32 v116, 0xf00, v114
	v_lshrrev_b32_e32 v114, 16, v114
	v_add_nc_u16 v115, 0xf800, v115
	v_or_b32_sdwa v115, v116, v115 dst_sel:DWORD dst_unused:UNUSED_PAD src0_sel:DWORD src1_sel:BYTE_1
	v_lshlrev_b16 v116, 8, v114
	v_and_b32_e32 v114, 0xf00, v114
	v_add_nc_u16 v115, 0xf800, v115
	v_add_nc_u16 v116, 0xf800, v116
	v_or_b32_sdwa v114, v114, v116 dst_sel:DWORD dst_unused:UNUSED_PAD src0_sel:DWORD src1_sel:BYTE_1
	v_lshrrev_b32_e32 v116, 8, v115
	v_cvt_f16_i16_sdwa v115, sext(v115) dst_sel:DWORD dst_unused:UNUSED_PAD src0_sel:BYTE_0
	v_add_nc_u16 v114, 0xf800, v114
	v_cvt_f16_i16_sdwa v116, sext(v116) dst_sel:DWORD dst_unused:UNUSED_PAD src0_sel:BYTE_0
	v_pack_b32_f16 v115, v115, v116
	v_lshrrev_b32_e32 v116, 8, v114
	v_cvt_f16_i16_sdwa v114, sext(v114) dst_sel:DWORD dst_unused:UNUSED_PAD src0_sel:BYTE_0
	v_pk_mul_f16 v115, v115, v108
	v_cvt_f16_i16_sdwa v116, sext(v116) dst_sel:DWORD dst_unused:UNUSED_PAD src0_sel:BYTE_0
	v_pk_fma_f16 v112, v115, v18, v112
	v_pack_b32_f16 v114, v114, v116
	buffer_load_dword v116, off, s[96:99], 0 offset:428 ; 4-byte Folded Reload
	v_pk_mul_f16 v108, v114, v108
	v_pk_fma_f16 v18, v108, v18, v110
	v_add_co_u32 v108, vcc_lo, v198, s8
	v_add_co_ci_u32_e64 v109, null, 0, v144, vcc_lo
	global_load_dword v110, v[108:109], off
	v_add_co_u32 v108, vcc_lo, v197, s8
	v_add_co_ci_u32_e64 v109, null, 0, v145, vcc_lo
	global_load_ushort v113, v[108:109], off
	v_add_co_u32 v108, vcc_lo, v192, s8
	v_add_co_ci_u32_e64 v109, null, 0, v193, vcc_lo
	s_clause 0x1
	buffer_load_dword v192, off, s[96:99], 0 offset:248
	buffer_load_dword v193, off, s[96:99], 0 offset:252
	global_load_dword v114, v[108:109], off
	v_add_co_u32 v108, vcc_lo, v195, s8
	v_add_co_ci_u32_e64 v109, null, 0, v58, vcc_lo
	global_load_ushort v108, v[108:109], off
	s_waitcnt vmcnt(5)
	v_ashrrev_i32_e32 v109, v105, v110
	v_and_b32_e32 v109, 0xf0f0f0f, v109
	s_waitcnt vmcnt(4)
	v_mul_u32_u24_e32 v113, 0x10001, v113
	v_lshlrev_b16 v110, 8, v109
	v_and_b32_e32 v115, 0xf00, v109
	v_lshrrev_b32_e32 v109, 16, v109
	v_add_nc_u16 v110, 0xf800, v110
	v_or_b32_sdwa v110, v115, v110 dst_sel:DWORD dst_unused:UNUSED_PAD src0_sel:DWORD src1_sel:BYTE_1
	v_lshlrev_b16 v115, 8, v109
	v_and_b32_e32 v109, 0xf00, v109
	s_waitcnt vmcnt(0)
	v_mul_u32_u24_e32 v108, 0x10001, v108
	v_add_nc_u16 v110, 0xf800, v110
	v_add_nc_u16 v115, 0xf800, v115
	v_or_b32_sdwa v109, v109, v115 dst_sel:DWORD dst_unused:UNUSED_PAD src0_sel:DWORD src1_sel:BYTE_1
	v_lshrrev_b32_e32 v115, 8, v110
	v_cvt_f16_i16_sdwa v110, sext(v110) dst_sel:DWORD dst_unused:UNUSED_PAD src0_sel:BYTE_0
	v_add_nc_u16 v109, 0xf800, v109
	v_cvt_f16_i16_sdwa v115, sext(v115) dst_sel:DWORD dst_unused:UNUSED_PAD src0_sel:BYTE_0
	v_pack_b32_f16 v110, v110, v115
	v_lshrrev_b32_e32 v115, 8, v109
	v_cvt_f16_i16_sdwa v109, sext(v109) dst_sel:DWORD dst_unused:UNUSED_PAD src0_sel:BYTE_0
	v_pk_mul_f16 v110, v110, v113
	v_cvt_f16_i16_sdwa v115, sext(v115) dst_sel:DWORD dst_unused:UNUSED_PAD src0_sel:BYTE_0
	v_pk_fma_f16 v110, v110, v19, v111
	v_pack_b32_f16 v109, v109, v115
	v_pk_mul_f16 v109, v109, v113
	v_ashrrev_i32_e32 v113, v105, v114
	v_pk_fma_f16 v25, v109, v19, v25
	v_and_b32_e32 v113, 0xf0f0f0f, v113
	v_lshlrev_b16 v114, 8, v113
	v_and_b32_e32 v115, 0xf00, v113
	v_lshrrev_b32_e32 v113, 16, v113
	v_add_nc_u16 v114, 0xf800, v114
	v_or_b32_sdwa v114, v115, v114 dst_sel:DWORD dst_unused:UNUSED_PAD src0_sel:DWORD src1_sel:BYTE_1
	v_lshlrev_b16 v115, 8, v113
	v_and_b32_e32 v113, 0xf00, v113
	v_add_nc_u16 v114, 0xf800, v114
	v_add_nc_u16 v115, 0xf800, v115
	v_or_b32_sdwa v113, v113, v115 dst_sel:DWORD dst_unused:UNUSED_PAD src0_sel:DWORD src1_sel:BYTE_1
	v_lshrrev_b32_e32 v115, 8, v114
	v_cvt_f16_i16_sdwa v114, sext(v114) dst_sel:DWORD dst_unused:UNUSED_PAD src0_sel:BYTE_0
	v_add_nc_u16 v113, 0xf800, v113
	v_cvt_f16_i16_sdwa v115, sext(v115) dst_sel:DWORD dst_unused:UNUSED_PAD src0_sel:BYTE_0
	v_pack_b32_f16 v114, v114, v115
	v_lshrrev_b32_e32 v115, 8, v113
	v_cvt_f16_i16_sdwa v113, sext(v113) dst_sel:DWORD dst_unused:UNUSED_PAD src0_sel:BYTE_0
	v_pk_mul_f16 v114, v114, v108
	v_cvt_f16_i16_sdwa v115, sext(v115) dst_sel:DWORD dst_unused:UNUSED_PAD src0_sel:BYTE_0
	v_pk_fma_f16 v109, v114, v19, v112
	v_pack_b32_f16 v113, v113, v115
	buffer_load_dword v115, off, s[96:99], 0 offset:424 ; 4-byte Folded Reload
	v_pk_mul_f16 v108, v113, v108
	v_pk_fma_f16 v108, v108, v19, v18
	v_add_co_u32 v18, vcc_lo, v190, s8
	v_add_co_ci_u32_e64 v19, null, 0, v191, vcc_lo
	global_load_dword v111, v[18:19], off
	v_add_co_u32 v18, vcc_lo, v192, s8
	v_add_co_ci_u32_e64 v19, null, 0, v193, vcc_lo
	global_load_ushort v112, v[18:19], off
	v_add_co_u32 v18, vcc_lo, v14, s8
	v_add_co_ci_u32_e64 v19, null, 0, v11, vcc_lo
	global_load_dword v113, v[18:19], off
	v_add_co_u32 v18, vcc_lo, v188, s8
	v_add_co_ci_u32_e64 v19, null, 0, v189, vcc_lo
	global_load_ushort v18, v[18:19], off
	s_waitcnt vmcnt(3)
	v_ashrrev_i32_e32 v19, v105, v111
	v_and_b32_e32 v19, 0xf0f0f0f, v19
	s_waitcnt vmcnt(2)
	v_mul_u32_u24_e32 v112, 0x10001, v112
	v_lshlrev_b16 v111, 8, v19
	v_and_b32_e32 v114, 0xf00, v19
	v_lshrrev_b32_e32 v19, 16, v19
	v_add_nc_u16 v111, 0xf800, v111
	v_or_b32_sdwa v111, v114, v111 dst_sel:DWORD dst_unused:UNUSED_PAD src0_sel:DWORD src1_sel:BYTE_1
	v_lshlrev_b16 v114, 8, v19
	v_and_b32_e32 v19, 0xf00, v19
	s_waitcnt vmcnt(0)
	v_mul_u32_u24_e32 v18, 0x10001, v18
	v_add_nc_u16 v111, 0xf800, v111
	v_add_nc_u16 v114, 0xf800, v114
	v_or_b32_sdwa v19, v19, v114 dst_sel:DWORD dst_unused:UNUSED_PAD src0_sel:DWORD src1_sel:BYTE_1
	v_lshrrev_b32_e32 v114, 8, v111
	v_cvt_f16_i16_sdwa v111, sext(v111) dst_sel:DWORD dst_unused:UNUSED_PAD src0_sel:BYTE_0
	v_add_nc_u16 v19, 0xf800, v19
	v_cvt_f16_i16_sdwa v114, sext(v114) dst_sel:DWORD dst_unused:UNUSED_PAD src0_sel:BYTE_0
	v_pack_b32_f16 v111, v111, v114
	v_lshrrev_b32_e32 v114, 8, v19
	v_cvt_f16_i16_sdwa v19, sext(v19) dst_sel:DWORD dst_unused:UNUSED_PAD src0_sel:BYTE_0
	v_pk_mul_f16 v111, v111, v112
	v_cvt_f16_i16_sdwa v114, sext(v114) dst_sel:DWORD dst_unused:UNUSED_PAD src0_sel:BYTE_0
	v_pk_fma_f16 v110, v111, v20, v110
	v_pack_b32_f16 v19, v19, v114
	v_pk_mul_f16 v19, v19, v112
	v_ashrrev_i32_e32 v112, v105, v113
	v_pk_fma_f16 v25, v19, v20, v25
	v_and_b32_e32 v112, 0xf0f0f0f, v112
	v_lshlrev_b16 v113, 8, v112
	v_and_b32_e32 v114, 0xf00, v112
	v_lshrrev_b32_e32 v112, 16, v112
	v_add_nc_u16 v113, 0xf800, v113
	v_or_b32_sdwa v113, v114, v113 dst_sel:DWORD dst_unused:UNUSED_PAD src0_sel:DWORD src1_sel:BYTE_1
	v_lshlrev_b16 v114, 8, v112
	v_and_b32_e32 v112, 0xf00, v112
	v_add_nc_u16 v113, 0xf800, v113
	v_add_nc_u16 v114, 0xf800, v114
	v_or_b32_sdwa v112, v112, v114 dst_sel:DWORD dst_unused:UNUSED_PAD src0_sel:DWORD src1_sel:BYTE_1
	v_lshrrev_b32_e32 v114, 8, v113
	v_cvt_f16_i16_sdwa v113, sext(v113) dst_sel:DWORD dst_unused:UNUSED_PAD src0_sel:BYTE_0
	v_add_nc_u16 v112, 0xf800, v112
	v_cvt_f16_i16_sdwa v114, sext(v114) dst_sel:DWORD dst_unused:UNUSED_PAD src0_sel:BYTE_0
	v_pack_b32_f16 v113, v113, v114
	v_lshrrev_b32_e32 v114, 8, v112
	v_cvt_f16_i16_sdwa v112, sext(v112) dst_sel:DWORD dst_unused:UNUSED_PAD src0_sel:BYTE_0
	v_pk_mul_f16 v113, v113, v18
	v_cvt_f16_i16_sdwa v114, sext(v114) dst_sel:DWORD dst_unused:UNUSED_PAD src0_sel:BYTE_0
	v_pk_fma_f16 v109, v113, v20, v109
	v_pack_b32_f16 v112, v112, v114
	buffer_load_dword v114, off, s[96:99], 0 offset:420 ; 4-byte Folded Reload
	v_pk_mul_f16 v18, v112, v18
	v_pk_fma_f16 v20, v18, v20, v108
	v_add_co_u32 v18, vcc_lo, v10, s8
	v_add_co_ci_u32_e64 v19, null, 0, v7, vcc_lo
	global_load_dword v108, v[18:19], off
	v_add_co_u32 v18, vcc_lo, v12, s8
	v_add_co_ci_u32_e64 v19, null, 0, v13, vcc_lo
	global_load_ushort v111, v[18:19], off
	v_add_co_u32 v18, vcc_lo, v6, s8
	v_add_co_ci_u32_e64 v19, null, 0, v3, vcc_lo
	global_load_dword v112, v[18:19], off
	v_add_co_u32 v18, vcc_lo, v8, s8
	v_add_co_ci_u32_e64 v19, null, 0, v9, vcc_lo
	global_load_ushort v18, v[18:19], off
	s_waitcnt vmcnt(3)
	v_ashrrev_i32_e32 v19, v105, v108
	v_and_b32_e32 v19, 0xf0f0f0f, v19
	s_waitcnt vmcnt(2)
	v_mul_u32_u24_e32 v111, 0x10001, v111
	v_lshlrev_b16 v108, 8, v19
	v_and_b32_e32 v113, 0xf00, v19
	v_lshrrev_b32_e32 v19, 16, v19
	v_add_nc_u16 v108, 0xf800, v108
	v_or_b32_sdwa v108, v113, v108 dst_sel:DWORD dst_unused:UNUSED_PAD src0_sel:DWORD src1_sel:BYTE_1
	v_lshlrev_b16 v113, 8, v19
	v_and_b32_e32 v19, 0xf00, v19
	s_waitcnt vmcnt(0)
	v_mul_u32_u24_e32 v18, 0x10001, v18
	v_add_nc_u16 v108, 0xf800, v108
	v_add_nc_u16 v113, 0xf800, v113
	v_or_b32_sdwa v19, v19, v113 dst_sel:DWORD dst_unused:UNUSED_PAD src0_sel:DWORD src1_sel:BYTE_1
	v_lshrrev_b32_e32 v113, 8, v108
	v_cvt_f16_i16_sdwa v108, sext(v108) dst_sel:DWORD dst_unused:UNUSED_PAD src0_sel:BYTE_0
	v_add_nc_u16 v19, 0xf800, v19
	v_cvt_f16_i16_sdwa v113, sext(v113) dst_sel:DWORD dst_unused:UNUSED_PAD src0_sel:BYTE_0
	v_pack_b32_f16 v108, v108, v113
	v_lshrrev_b32_e32 v113, 8, v19
	v_cvt_f16_i16_sdwa v19, sext(v19) dst_sel:DWORD dst_unused:UNUSED_PAD src0_sel:BYTE_0
	v_pk_mul_f16 v108, v108, v111
	v_cvt_f16_i16_sdwa v113, sext(v113) dst_sel:DWORD dst_unused:UNUSED_PAD src0_sel:BYTE_0
	v_pk_fma_f16 v108, v108, v22, v110
	v_pack_b32_f16 v19, v19, v113
	v_pk_mul_f16 v19, v19, v111
	v_ashrrev_i32_e32 v111, v105, v112
	v_pk_fma_f16 v25, v19, v22, v25
	v_and_b32_e32 v111, 0xf0f0f0f, v111
	v_lshlrev_b16 v112, 8, v111
	v_and_b32_e32 v113, 0xf00, v111
	v_lshrrev_b32_e32 v111, 16, v111
	v_add_nc_u16 v112, 0xf800, v112
	v_or_b32_sdwa v112, v113, v112 dst_sel:DWORD dst_unused:UNUSED_PAD src0_sel:DWORD src1_sel:BYTE_1
	v_lshlrev_b16 v113, 8, v111
	v_and_b32_e32 v111, 0xf00, v111
	v_add_nc_u16 v112, 0xf800, v112
	v_add_nc_u16 v113, 0xf800, v113
	v_or_b32_sdwa v111, v111, v113 dst_sel:DWORD dst_unused:UNUSED_PAD src0_sel:DWORD src1_sel:BYTE_1
	v_lshrrev_b32_e32 v113, 8, v112
	v_cvt_f16_i16_sdwa v112, sext(v112) dst_sel:DWORD dst_unused:UNUSED_PAD src0_sel:BYTE_0
	v_add_nc_u16 v111, 0xf800, v111
	v_cvt_f16_i16_sdwa v113, sext(v113) dst_sel:DWORD dst_unused:UNUSED_PAD src0_sel:BYTE_0
	v_pack_b32_f16 v112, v112, v113
	v_lshrrev_b32_e32 v113, 8, v111
	v_cvt_f16_i16_sdwa v111, sext(v111) dst_sel:DWORD dst_unused:UNUSED_PAD src0_sel:BYTE_0
	v_pk_mul_f16 v112, v112, v18
	v_cvt_f16_i16_sdwa v113, sext(v113) dst_sel:DWORD dst_unused:UNUSED_PAD src0_sel:BYTE_0
	v_pk_fma_f16 v109, v112, v22, v109
	v_pack_b32_f16 v111, v111, v113
	buffer_load_dword v113, off, s[96:99], 0 offset:416 ; 4-byte Folded Reload
	v_pk_mul_f16 v18, v111, v18
	v_pk_fma_f16 v20, v18, v22, v20
	v_add_co_u32 v18, vcc_lo, v165, s8
	v_add_co_ci_u32_e64 v19, null, 0, v2, vcc_lo
	global_load_dword v22, v[18:19], off
	v_add_co_u32 v18, vcc_lo, v4, s8
	v_add_co_ci_u32_e64 v19, null, 0, v5, vcc_lo
	global_load_ushort v110, v[18:19], off
	v_add_co_u32 v18, vcc_lo, v161, s8
	v_add_co_ci_u32_e64 v19, null, 0, v162, vcc_lo
	global_load_dword v111, v[18:19], off
	v_add_co_u32 v18, vcc_lo, v163, s8
	v_add_co_ci_u32_e64 v19, null, 0, v164, vcc_lo
	global_load_ushort v18, v[18:19], off
	s_waitcnt vmcnt(3)
	v_ashrrev_i32_e32 v19, v105, v22
	v_and_b32_e32 v19, 0xf0f0f0f, v19
	s_waitcnt vmcnt(2)
	v_mul_u32_u24_e32 v110, 0x10001, v110
	v_lshlrev_b16 v22, 8, v19
	v_and_b32_e32 v112, 0xf00, v19
	v_lshrrev_b32_e32 v19, 16, v19
	v_add_nc_u16 v22, 0xf800, v22
	v_or_b32_sdwa v22, v112, v22 dst_sel:DWORD dst_unused:UNUSED_PAD src0_sel:DWORD src1_sel:BYTE_1
	v_lshlrev_b16 v112, 8, v19
	v_and_b32_e32 v19, 0xf00, v19
	s_waitcnt vmcnt(0)
	v_mul_u32_u24_e32 v18, 0x10001, v18
	v_add_nc_u16 v22, 0xf800, v22
	v_add_nc_u16 v112, 0xf800, v112
	v_or_b32_sdwa v19, v19, v112 dst_sel:DWORD dst_unused:UNUSED_PAD src0_sel:DWORD src1_sel:BYTE_1
	v_lshrrev_b32_e32 v112, 8, v22
	v_cvt_f16_i16_sdwa v22, sext(v22) dst_sel:DWORD dst_unused:UNUSED_PAD src0_sel:BYTE_0
	v_add_nc_u16 v19, 0xf800, v19
	v_cvt_f16_i16_sdwa v112, sext(v112) dst_sel:DWORD dst_unused:UNUSED_PAD src0_sel:BYTE_0
	v_pack_b32_f16 v22, v22, v112
	v_lshrrev_b32_e32 v112, 8, v19
	v_cvt_f16_i16_sdwa v19, sext(v19) dst_sel:DWORD dst_unused:UNUSED_PAD src0_sel:BYTE_0
	v_pk_mul_f16 v22, v22, v110
	v_cvt_f16_i16_sdwa v112, sext(v112) dst_sel:DWORD dst_unused:UNUSED_PAD src0_sel:BYTE_0
	v_pk_fma_f16 v22, v22, v23, v108
	v_pack_b32_f16 v19, v19, v112
	v_pk_mul_f16 v19, v19, v110
	v_ashrrev_i32_e32 v110, v105, v111
	v_pk_fma_f16 v25, v19, v23, v25
	v_and_b32_e32 v110, 0xf0f0f0f, v110
	v_lshlrev_b16 v111, 8, v110
	v_and_b32_e32 v112, 0xf00, v110
	v_lshrrev_b32_e32 v110, 16, v110
	v_add_nc_u16 v111, 0xf800, v111
	v_or_b32_sdwa v111, v112, v111 dst_sel:DWORD dst_unused:UNUSED_PAD src0_sel:DWORD src1_sel:BYTE_1
	v_lshlrev_b16 v112, 8, v110
	v_and_b32_e32 v110, 0xf00, v110
	v_add_nc_u16 v111, 0xf800, v111
	v_add_nc_u16 v112, 0xf800, v112
	v_or_b32_sdwa v110, v110, v112 dst_sel:DWORD dst_unused:UNUSED_PAD src0_sel:DWORD src1_sel:BYTE_1
	v_lshrrev_b32_e32 v112, 8, v111
	v_cvt_f16_i16_sdwa v111, sext(v111) dst_sel:DWORD dst_unused:UNUSED_PAD src0_sel:BYTE_0
	v_add_nc_u16 v110, 0xf800, v110
	v_cvt_f16_i16_sdwa v112, sext(v112) dst_sel:DWORD dst_unused:UNUSED_PAD src0_sel:BYTE_0
	v_pack_b32_f16 v111, v111, v112
	v_lshrrev_b32_e32 v112, 8, v110
	v_cvt_f16_i16_sdwa v110, sext(v110) dst_sel:DWORD dst_unused:UNUSED_PAD src0_sel:BYTE_0
	v_pk_mul_f16 v111, v111, v18
	v_cvt_f16_i16_sdwa v112, sext(v112) dst_sel:DWORD dst_unused:UNUSED_PAD src0_sel:BYTE_0
	v_pk_fma_f16 v108, v111, v23, v109
	v_pack_b32_f16 v110, v110, v112
	buffer_load_dword v112, off, s[96:99], 0 offset:412 ; 4-byte Folded Reload
	v_pk_mul_f16 v18, v110, v18
	v_pk_fma_f16 v20, v18, v23, v20
	v_add_co_u32 v18, vcc_lo, v141, s8
	v_add_co_ci_u32_e64 v19, null, 0, v167, vcc_lo
	global_load_dword v23, v[18:19], off
	v_add_co_u32 v18, vcc_lo, v159, s8
	v_add_co_ci_u32_e64 v19, null, 0, v160, vcc_lo
	global_load_ushort v109, v[18:19], off
	v_add_co_u32 v18, vcc_lo, v137, s8
	v_add_co_ci_u32_e64 v19, null, 0, v138, vcc_lo
	global_load_dword v110, v[18:19], off
	v_add_co_u32 v18, vcc_lo, v139, s8
	v_add_co_ci_u32_e64 v19, null, 0, v140, vcc_lo
	global_load_ushort v18, v[18:19], off
	s_waitcnt vmcnt(3)
	v_ashrrev_i32_e32 v19, v105, v23
	v_and_b32_e32 v19, 0xf0f0f0f, v19
	s_waitcnt vmcnt(2)
	v_mul_u32_u24_e32 v109, 0x10001, v109
	v_lshlrev_b16 v23, 8, v19
	v_and_b32_e32 v111, 0xf00, v19
	v_lshrrev_b32_e32 v19, 16, v19
	v_add_nc_u16 v23, 0xf800, v23
	v_or_b32_sdwa v23, v111, v23 dst_sel:DWORD dst_unused:UNUSED_PAD src0_sel:DWORD src1_sel:BYTE_1
	v_lshlrev_b16 v111, 8, v19
	v_and_b32_e32 v19, 0xf00, v19
	s_waitcnt vmcnt(0)
	v_mul_u32_u24_e32 v18, 0x10001, v18
	v_add_nc_u16 v23, 0xf800, v23
	v_add_nc_u16 v111, 0xf800, v111
	v_or_b32_sdwa v19, v19, v111 dst_sel:DWORD dst_unused:UNUSED_PAD src0_sel:DWORD src1_sel:BYTE_1
	v_lshrrev_b32_e32 v111, 8, v23
	v_cvt_f16_i16_sdwa v23, sext(v23) dst_sel:DWORD dst_unused:UNUSED_PAD src0_sel:BYTE_0
	v_add_nc_u16 v19, 0xf800, v19
	v_cvt_f16_i16_sdwa v111, sext(v111) dst_sel:DWORD dst_unused:UNUSED_PAD src0_sel:BYTE_0
	v_pack_b32_f16 v23, v23, v111
	v_lshrrev_b32_e32 v111, 8, v19
	v_cvt_f16_i16_sdwa v19, sext(v19) dst_sel:DWORD dst_unused:UNUSED_PAD src0_sel:BYTE_0
	v_pk_mul_f16 v23, v23, v109
	v_cvt_f16_i16_sdwa v111, sext(v111) dst_sel:DWORD dst_unused:UNUSED_PAD src0_sel:BYTE_0
	v_pk_fma_f16 v22, v23, v121, v22
	v_pack_b32_f16 v19, v19, v111
	v_pk_mul_f16 v19, v19, v109
	v_ashrrev_i32_e32 v109, v105, v110
	v_pk_fma_f16 v23, v19, v121, v25
	v_and_b32_e32 v109, 0xf0f0f0f, v109
	v_lshlrev_b16 v110, 8, v109
	v_and_b32_e32 v111, 0xf00, v109
	v_lshrrev_b32_e32 v109, 16, v109
	v_add_nc_u16 v110, 0xf800, v110
	v_or_b32_sdwa v110, v111, v110 dst_sel:DWORD dst_unused:UNUSED_PAD src0_sel:DWORD src1_sel:BYTE_1
	v_lshlrev_b16 v111, 8, v109
	v_and_b32_e32 v109, 0xf00, v109
	v_add_nc_u16 v110, 0xf800, v110
	v_add_nc_u16 v111, 0xf800, v111
	v_or_b32_sdwa v109, v109, v111 dst_sel:DWORD dst_unused:UNUSED_PAD src0_sel:DWORD src1_sel:BYTE_1
	v_lshrrev_b32_e32 v111, 8, v110
	v_cvt_f16_i16_sdwa v110, sext(v110) dst_sel:DWORD dst_unused:UNUSED_PAD src0_sel:BYTE_0
	v_add_nc_u16 v109, 0xf800, v109
	v_cvt_f16_i16_sdwa v111, sext(v111) dst_sel:DWORD dst_unused:UNUSED_PAD src0_sel:BYTE_0
	v_pack_b32_f16 v110, v110, v111
	v_lshrrev_b32_e32 v111, 8, v109
	v_cvt_f16_i16_sdwa v109, sext(v109) dst_sel:DWORD dst_unused:UNUSED_PAD src0_sel:BYTE_0
	v_pk_mul_f16 v110, v110, v18
	v_cvt_f16_i16_sdwa v111, sext(v111) dst_sel:DWORD dst_unused:UNUSED_PAD src0_sel:BYTE_0
	v_pk_fma_f16 v25, v110, v121, v108
	v_pack_b32_f16 v109, v109, v111
	v_pk_mul_f16 v18, v109, v18
	v_pk_fma_f16 v20, v18, v121, v20
	v_add_co_u32 v18, vcc_lo, v132, s8
	v_add_co_ci_u32_e64 v19, null, 0, v134, vcc_lo
	buffer_load_dword v121, off, s[96:99], 0 offset:448 ; 4-byte Folded Reload
	global_load_dword v108, v[18:19], off
	v_add_co_u32 v18, vcc_lo, v135, s8
	v_add_co_ci_u32_e64 v19, null, 0, v136, vcc_lo
	global_load_ushort v109, v[18:19], off
	v_add_co_u32 v18, vcc_lo, v128, s8
	v_add_co_ci_u32_e64 v19, null, 0, v129, vcc_lo
	global_load_dword v110, v[18:19], off
	v_add_co_u32 v18, vcc_lo, v130, s8
	v_add_co_ci_u32_e64 v19, null, 0, v131, vcc_lo
	global_load_ushort v18, v[18:19], off
	s_waitcnt vmcnt(3)
	v_ashrrev_i32_e32 v19, v105, v108
	v_and_b32_e32 v19, 0xf0f0f0f, v19
	s_waitcnt vmcnt(2)
	v_mul_u32_u24_e32 v109, 0x10001, v109
	v_lshlrev_b16 v108, 8, v19
	v_and_b32_e32 v111, 0xf00, v19
	v_lshrrev_b32_e32 v19, 16, v19
	v_add_nc_u16 v108, 0xf800, v108
	v_or_b32_sdwa v108, v111, v108 dst_sel:DWORD dst_unused:UNUSED_PAD src0_sel:DWORD src1_sel:BYTE_1
	v_lshlrev_b16 v111, 8, v19
	v_and_b32_e32 v19, 0xf00, v19
	s_waitcnt vmcnt(0)
	v_mul_u32_u24_e32 v18, 0x10001, v18
	v_add_nc_u16 v108, 0xf800, v108
	v_add_nc_u16 v111, 0xf800, v111
	v_or_b32_sdwa v19, v19, v111 dst_sel:DWORD dst_unused:UNUSED_PAD src0_sel:DWORD src1_sel:BYTE_1
	v_lshrrev_b32_e32 v111, 8, v108
	v_cvt_f16_i16_sdwa v108, sext(v108) dst_sel:DWORD dst_unused:UNUSED_PAD src0_sel:BYTE_0
	v_add_nc_u16 v19, 0xf800, v19
	v_cvt_f16_i16_sdwa v111, sext(v111) dst_sel:DWORD dst_unused:UNUSED_PAD src0_sel:BYTE_0
	v_pack_b32_f16 v108, v108, v111
	v_lshrrev_b32_e32 v111, 8, v19
	v_cvt_f16_i16_sdwa v19, sext(v19) dst_sel:DWORD dst_unused:UNUSED_PAD src0_sel:BYTE_0
	v_pk_mul_f16 v108, v108, v109
	v_cvt_f16_i16_sdwa v111, sext(v111) dst_sel:DWORD dst_unused:UNUSED_PAD src0_sel:BYTE_0
	v_pk_fma_f16 v22, v108, v24, v22
	v_pack_b32_f16 v19, v19, v111
	v_pk_mul_f16 v19, v19, v109
	v_ashrrev_i32_e32 v109, v105, v110
	v_pk_fma_f16 v23, v19, v24, v23
	v_and_b32_e32 v109, 0xf0f0f0f, v109
	v_lshlrev_b16 v110, 8, v109
	v_and_b32_e32 v111, 0xf00, v109
	v_lshrrev_b32_e32 v109, 16, v109
	v_add_nc_u16 v110, 0xf800, v110
	v_or_b32_sdwa v110, v111, v110 dst_sel:DWORD dst_unused:UNUSED_PAD src0_sel:DWORD src1_sel:BYTE_1
	v_lshlrev_b16 v111, 8, v109
	v_and_b32_e32 v109, 0xf00, v109
	v_add_nc_u16 v110, 0xf800, v110
	v_add_nc_u16 v111, 0xf800, v111
	v_or_b32_sdwa v109, v109, v111 dst_sel:DWORD dst_unused:UNUSED_PAD src0_sel:DWORD src1_sel:BYTE_1
	v_lshrrev_b32_e32 v111, 8, v110
	v_cvt_f16_i16_sdwa v110, sext(v110) dst_sel:DWORD dst_unused:UNUSED_PAD src0_sel:BYTE_0
	v_add_nc_u16 v109, 0xf800, v109
	v_cvt_f16_i16_sdwa v111, sext(v111) dst_sel:DWORD dst_unused:UNUSED_PAD src0_sel:BYTE_0
	v_pack_b32_f16 v110, v110, v111
	v_lshrrev_b32_e32 v111, 8, v109
	v_cvt_f16_i16_sdwa v109, sext(v109) dst_sel:DWORD dst_unused:UNUSED_PAD src0_sel:BYTE_0
	v_pk_mul_f16 v110, v110, v18
	v_cvt_f16_i16_sdwa v111, sext(v111) dst_sel:DWORD dst_unused:UNUSED_PAD src0_sel:BYTE_0
	v_pk_fma_f16 v25, v110, v24, v25
	v_pack_b32_f16 v109, v109, v111
	buffer_load_dword v111, off, s[96:99], 0 offset:408 ; 4-byte Folded Reload
	v_pk_mul_f16 v18, v109, v18
	v_pk_fma_f16 v20, v18, v24, v20
	v_add_co_u32 v18, vcc_lo, v124, s8
	v_add_co_ci_u32_e64 v19, null, 0, v125, vcc_lo
	global_load_dword v24, v[18:19], off
	v_add_co_u32 v18, vcc_lo, v126, s8
	v_add_co_ci_u32_e64 v19, null, 0, v127, vcc_lo
	global_load_ushort v108, v[18:19], off
	v_add_co_u32 v18, vcc_lo, v119, s8
	v_add_co_ci_u32_e64 v19, null, 0, v120, vcc_lo
	global_load_dword v109, v[18:19], off
	v_add_co_u32 v18, vcc_lo, v121, s8
	v_add_co_ci_u32_e64 v19, null, 0, v122, vcc_lo
	global_load_ushort v18, v[18:19], off
	s_waitcnt vmcnt(3)
	v_ashrrev_i32_e32 v19, v105, v24
	v_and_b32_e32 v19, 0xf0f0f0f, v19
	s_waitcnt vmcnt(2)
	v_mul_u32_u24_e32 v108, 0x10001, v108
	v_lshlrev_b16 v24, 8, v19
	v_and_b32_e32 v110, 0xf00, v19
	v_lshrrev_b32_e32 v19, 16, v19
	v_add_nc_u16 v24, 0xf800, v24
	v_or_b32_sdwa v24, v110, v24 dst_sel:DWORD dst_unused:UNUSED_PAD src0_sel:DWORD src1_sel:BYTE_1
	v_lshlrev_b16 v110, 8, v19
	v_and_b32_e32 v19, 0xf00, v19
	s_waitcnt vmcnt(0)
	v_mul_u32_u24_e32 v18, 0x10001, v18
	v_add_nc_u16 v24, 0xf800, v24
	v_add_nc_u16 v110, 0xf800, v110
	v_or_b32_sdwa v19, v19, v110 dst_sel:DWORD dst_unused:UNUSED_PAD src0_sel:DWORD src1_sel:BYTE_1
	v_lshrrev_b32_e32 v110, 8, v24
	v_cvt_f16_i16_sdwa v24, sext(v24) dst_sel:DWORD dst_unused:UNUSED_PAD src0_sel:BYTE_0
	v_add_nc_u16 v19, 0xf800, v19
	v_cvt_f16_i16_sdwa v110, sext(v110) dst_sel:DWORD dst_unused:UNUSED_PAD src0_sel:BYTE_0
	v_pack_b32_f16 v24, v24, v110
	v_lshrrev_b32_e32 v110, 8, v19
	v_cvt_f16_i16_sdwa v19, sext(v19) dst_sel:DWORD dst_unused:UNUSED_PAD src0_sel:BYTE_0
	v_pk_mul_f16 v24, v24, v108
	v_cvt_f16_i16_sdwa v110, sext(v110) dst_sel:DWORD dst_unused:UNUSED_PAD src0_sel:BYTE_0
	v_pk_fma_f16 v22, v24, v123, v22
	v_pack_b32_f16 v19, v19, v110
	v_pk_mul_f16 v19, v19, v108
	v_ashrrev_i32_e32 v108, v105, v109
	v_pk_fma_f16 v23, v19, v123, v23
	v_and_b32_e32 v108, 0xf0f0f0f, v108
	v_lshlrev_b16 v109, 8, v108
	v_and_b32_e32 v110, 0xf00, v108
	v_lshrrev_b32_e32 v108, 16, v108
	v_add_nc_u16 v109, 0xf800, v109
	v_or_b32_sdwa v109, v110, v109 dst_sel:DWORD dst_unused:UNUSED_PAD src0_sel:DWORD src1_sel:BYTE_1
	v_lshlrev_b16 v110, 8, v108
	v_and_b32_e32 v108, 0xf00, v108
	v_add_nc_u16 v109, 0xf800, v109
	v_add_nc_u16 v110, 0xf800, v110
	v_or_b32_sdwa v108, v108, v110 dst_sel:DWORD dst_unused:UNUSED_PAD src0_sel:DWORD src1_sel:BYTE_1
	v_lshrrev_b32_e32 v110, 8, v109
	v_cvt_f16_i16_sdwa v109, sext(v109) dst_sel:DWORD dst_unused:UNUSED_PAD src0_sel:BYTE_0
	v_add_nc_u16 v108, 0xf800, v108
	v_cvt_f16_i16_sdwa v110, sext(v110) dst_sel:DWORD dst_unused:UNUSED_PAD src0_sel:BYTE_0
	v_pack_b32_f16 v109, v109, v110
	v_lshrrev_b32_e32 v110, 8, v108
	v_cvt_f16_i16_sdwa v108, sext(v108) dst_sel:DWORD dst_unused:UNUSED_PAD src0_sel:BYTE_0
	v_pk_mul_f16 v109, v109, v18
	v_cvt_f16_i16_sdwa v110, sext(v110) dst_sel:DWORD dst_unused:UNUSED_PAD src0_sel:BYTE_0
	v_pk_fma_f16 v24, v109, v123, v25
	v_pack_b32_f16 v108, v108, v110
	v_pk_mul_f16 v18, v108, v18
	v_pk_fma_f16 v20, v18, v123, v20
	v_add_co_u32 v18, vcc_lo, v115, s8
	v_add_co_ci_u32_e64 v19, null, 0, v116, vcc_lo
	global_load_dword v25, v[18:19], off
	v_add_co_u32 v18, vcc_lo, v117, s8
	v_add_co_ci_u32_e64 v19, null, 0, v118, vcc_lo
	global_load_ushort v108, v[18:19], off
	v_add_co_u32 v18, vcc_lo, v111, s8
	v_add_co_ci_u32_e64 v19, null, 0, v112, vcc_lo
	global_load_dword v109, v[18:19], off
	v_add_co_u32 v18, vcc_lo, v113, s8
	v_add_co_ci_u32_e64 v19, null, 0, v114, vcc_lo
	global_load_ushort v18, v[18:19], off
	s_waitcnt vmcnt(3)
	v_ashrrev_i32_e32 v19, v105, v25
	v_and_b32_e32 v19, 0xf0f0f0f, v19
	s_waitcnt vmcnt(2)
	v_mul_u32_u24_e32 v108, 0x10001, v108
	v_lshlrev_b16 v25, 8, v19
	v_and_b32_e32 v110, 0xf00, v19
	v_lshrrev_b32_e32 v19, 16, v19
	v_add_nc_u16 v25, 0xf800, v25
	v_or_b32_sdwa v25, v110, v25 dst_sel:DWORD dst_unused:UNUSED_PAD src0_sel:DWORD src1_sel:BYTE_1
	v_lshlrev_b16 v110, 8, v19
	v_and_b32_e32 v19, 0xf00, v19
	s_waitcnt vmcnt(0)
	v_mul_u32_u24_e32 v18, 0x10001, v18
	v_add_nc_u16 v25, 0xf800, v25
	v_add_nc_u16 v110, 0xf800, v110
	v_or_b32_sdwa v19, v19, v110 dst_sel:DWORD dst_unused:UNUSED_PAD src0_sel:DWORD src1_sel:BYTE_1
	v_lshrrev_b32_e32 v110, 8, v25
	v_cvt_f16_i16_sdwa v25, sext(v25) dst_sel:DWORD dst_unused:UNUSED_PAD src0_sel:BYTE_0
	v_add_nc_u16 v19, 0xf800, v19
	v_cvt_f16_i16_sdwa v110, sext(v110) dst_sel:DWORD dst_unused:UNUSED_PAD src0_sel:BYTE_0
	v_pack_b32_f16 v25, v25, v110
	v_lshrrev_b32_e32 v110, 8, v19
	v_cvt_f16_i16_sdwa v19, sext(v19) dst_sel:DWORD dst_unused:UNUSED_PAD src0_sel:BYTE_0
	v_pk_mul_f16 v25, v25, v108
	v_cvt_f16_i16_sdwa v110, sext(v110) dst_sel:DWORD dst_unused:UNUSED_PAD src0_sel:BYTE_0
	v_pk_fma_f16 v25, v25, v21, v22
	v_pack_b32_f16 v19, v19, v110
	v_pk_mul_f16 v19, v19, v108
	v_ashrrev_i32_e32 v108, v105, v109
	v_and_b32_e32 v108, 0xf0f0f0f, v108
	v_lshlrev_b16 v109, 8, v108
	v_and_b32_e32 v110, 0xf00, v108
	v_lshrrev_b32_e32 v108, 16, v108
	v_add_nc_u16 v109, 0xf800, v109
	v_or_b32_sdwa v109, v110, v109 dst_sel:DWORD dst_unused:UNUSED_PAD src0_sel:DWORD src1_sel:BYTE_1
	v_lshlrev_b16 v110, 8, v108
	v_and_b32_e32 v108, 0xf00, v108
	v_add_nc_u16 v109, 0xf800, v109
	v_add_nc_u16 v110, 0xf800, v110
	v_or_b32_sdwa v108, v108, v110 dst_sel:DWORD dst_unused:UNUSED_PAD src0_sel:DWORD src1_sel:BYTE_1
	v_lshrrev_b32_e32 v110, 8, v109
	v_cvt_f16_i16_sdwa v109, sext(v109) dst_sel:DWORD dst_unused:UNUSED_PAD src0_sel:BYTE_0
	v_add_nc_u16 v108, 0xf800, v108
	v_cvt_f16_i16_sdwa v110, sext(v110) dst_sel:DWORD dst_unused:UNUSED_PAD src0_sel:BYTE_0
	v_pack_b32_f16 v109, v109, v110
	v_lshrrev_b32_e32 v110, 8, v108
	v_cvt_f16_i16_sdwa v108, sext(v108) dst_sel:DWORD dst_unused:UNUSED_PAD src0_sel:BYTE_0
	v_pk_mul_f16 v109, v109, v18
	v_cvt_f16_i16_sdwa v110, sext(v110) dst_sel:DWORD dst_unused:UNUSED_PAD src0_sel:BYTE_0
	v_pack_b32_f16 v108, v108, v110
	v_pk_fma_f16 v110, v19, v21, v23
	v_pk_mul_f16 v18, v108, v18
	v_pk_fma_f16 v108, v109, v21, v24
	buffer_load_dword v24, off, s[96:99], 0 offset:588 ; 4-byte Folded Reload
	v_pk_fma_f16 v17, v18, v21, v20
	buffer_load_dword v18, off, s[96:99], 0 ; 4-byte Folded Reload
	s_waitcnt vmcnt(1)
	v_add_co_u32 v24, vcc_lo, v24, s10
	s_waitcnt vmcnt(0)
	v_add_co_ci_u32_e64 v18, null, 0, v18, vcc_lo
	buffer_store_dword v18, off, s[96:99], 0 ; 4-byte Folded Spill
	s_clause 0x5
	buffer_load_dword v22, off, s[96:99], 0 offset:596
	buffer_load_dword v23, off, s[96:99], 0 offset:600
	;; [unrolled: 1-line block ×6, first 2 shown]
	s_waitcnt vmcnt(5)
	v_add_co_u32 v22, vcc_lo, v22, s2
	s_waitcnt vmcnt(4)
	v_add_co_ci_u32_e64 v23, null, s3, v23, vcc_lo
	v_add_co_u32 v168, vcc_lo, v168, s11
	v_add_co_ci_u32_e64 v169, null, 0, v169, vcc_lo
	v_add_co_u32 v170, vcc_lo, v170, s11
	;; [unrolled: 2-line block ×5, first 2 shown]
	v_add_co_ci_u32_e64 v176, null, 0, v176, vcc_lo
	s_waitcnt vmcnt(3)
	v_add_co_u32 v18, vcc_lo, v18, s10
	buffer_store_dword v18, off, s[96:99], 0 offset:4 ; 4-byte Folded Spill
	buffer_load_dword v18, off, s[96:99], 0 offset:8 ; 4-byte Folded Reload
	s_waitcnt vmcnt(0)
	v_add_co_ci_u32_e64 v18, null, 0, v18, vcc_lo
	buffer_store_dword v18, off, s[96:99], 0 offset:8 ; 4-byte Folded Spill
	buffer_load_dword v18, off, s[96:99], 0 offset:388 ; 4-byte Folded Reload
	s_waitcnt vmcnt(0)
	v_add_co_u32 v18, vcc_lo, v18, s10
	v_add_co_ci_u32_e64 v19, null, 0, v19, vcc_lo
	v_add_co_u32 v177, vcc_lo, v177, s11
	v_add_co_ci_u32_e64 v178, null, 0, v178, vcc_lo
	;; [unrolled: 2-line block ×37, first 2 shown]
	buffer_store_dword v190, off, s[96:99], 0 offset:240 ; 4-byte Folded Spill
	buffer_store_dword v192, off, s[96:99], 0 offset:248 ; 4-byte Folded Spill
	v_mov_b32_e32 v192, v224
	buffer_store_dword v193, off, s[96:99], 0 offset:252 ; 4-byte Folded Spill
	v_mov_b32_e32 v193, v56
	v_mov_b32_e32 v224, v225
	;; [unrolled: 1-line block ×3, first 2 shown]
	v_add_co_u32 v192, vcc_lo, v192, s11
	v_add_co_ci_u32_e64 v193, null, 0, v193, vcc_lo
	v_add_co_u32 v195, vcc_lo, v195, s11
	v_add_co_ci_u32_e64 v58, null, 0, v58, vcc_lo
	;; [unrolled: 2-line block ×14, first 2 shown]
	v_add_co_u32 v223, vcc_lo, v223, s11
	v_mov_b32_e32 v226, v233
	v_add_co_ci_u32_e64 v156, null, 0, v156, vcc_lo
	v_add_co_u32 v157, vcc_lo, v157, s11
	v_add_co_ci_u32_e64 v224, null, 0, v224, vcc_lo
	v_add_co_u32 v225, vcc_lo, v225, s11
	;; [unrolled: 2-line block ×3, first 2 shown]
	v_mov_b32_e32 v233, v62
	v_add_co_ci_u32_e64 v229, null, 0, v229, vcc_lo
	buffer_store_dword v228, off, s[96:99], 0 offset:372 ; 4-byte Folded Spill
	v_mov_b32_e32 v228, v232
	v_mov_b32_e32 v62, v64
	;; [unrolled: 1-line block ×4, first 2 shown]
	buffer_store_dword v229, off, s[96:99], 0 offset:376 ; 4-byte Folded Spill
	v_add_co_u32 v228, vcc_lo, v228, s11
	v_add_co_ci_u32_e64 v217, null, 0, v217, vcc_lo
	v_add_co_u32 v230, vcc_lo, v230, s11
	v_add_co_ci_u32_e64 v227, null, 0, v227, vcc_lo
	;; [unrolled: 2-line block ×12, first 2 shown]
	v_add_co_u32 v253, vcc_lo, v253, s11
	v_mov_b32_e32 v229, v166
	v_add_co_ci_u32_e64 v254, null, 0, v254, vcc_lo
	v_add_co_u32 v255, vcc_lo, v255, s11
	v_add_co_ci_u32_e64 v62, null, 0, v62, vcc_lo
	v_add_co_u32 v64, vcc_lo, v64, s11
	v_mov_b32_e32 v232, v34
	v_add_co_ci_u32_e64 v60, null, 0, v60, vcc_lo
	v_add_co_u32 v229, vcc_lo, v229, s11
	v_add_co_ci_u32_e64 v231, null, 0, v231, vcc_lo
	v_add_co_u32 v63, vcc_lo, v63, s11
	;; [unrolled: 2-line block ×7, first 2 shown]
	v_mov_b32_e32 v34, v37
	v_add_co_ci_u32_e64 v30, null, 0, v30, vcc_lo
	v_add_co_u32 v31, vcc_lo, v31, s11
	v_mov_b32_e32 v37, v44
	v_add_co_ci_u32_e64 v32, null, 0, v32, vcc_lo
	v_add_co_u32 v33, vcc_lo, v33, s11
	v_add_co_ci_u32_e64 v34, null, 0, v34, vcc_lo
	v_add_co_u32 v35, vcc_lo, v35, s11
	;; [unrolled: 2-line block ×4, first 2 shown]
	v_mov_b32_e32 v44, v48
	v_add_co_ci_u32_e64 v40, null, 0, v40, vcc_lo
	v_add_co_u32 v41, vcc_lo, v41, s11
	v_add_co_ci_u32_e64 v42, null, 0, v42, vcc_lo
	v_add_co_u32 v43, vcc_lo, v43, s11
	v_mov_b32_e32 v1, v54
	v_add_co_ci_u32_e64 v44, null, 0, v44, vcc_lo
	v_add_co_u32 v45, vcc_lo, v45, s11
	v_add_co_ci_u32_e64 v46, null, 0, v46, vcc_lo
	v_add_co_u32 v47, vcc_lo, v47, s11
	;; [unrolled: 2-line block ×6, first 2 shown]
	buffer_store_dword v217, off, s[96:99], 0 offset:380 ; 4-byte Folded Spill
	v_add_co_ci_u32_e64 v217, null, 0, v57, vcc_lo
	buffer_load_dword v57, off, s[96:99], 0 offset:524 ; 4-byte Folded Reload
	v_add_co_u32 v56, vcc_lo, v70, s11
	buffer_load_dword v70, off, s[96:99], 0 offset:528 ; 4-byte Folded Reload
	v_add_co_ci_u32_e64 v52, null, 0, v52, vcc_lo
	v_add_co_u32 v133, vcc_lo, v133, s11
	v_add_co_ci_u32_e64 v71, null, 0, v71, vcc_lo
	v_add_co_u32 v72, vcc_lo, v72, s11
	;; [unrolled: 2-line block ×9, first 2 shown]
	v_mov_b32_e32 v48, v107
	v_add_co_ci_u32_e64 v87, null, 0, v87, vcc_lo
	v_add_co_u32 v88, vcc_lo, v88, s11
	v_add_co_ci_u32_e64 v89, null, 0, v89, vcc_lo
	v_add_co_u32 v90, vcc_lo, v90, s11
	;; [unrolled: 2-line block ×4, first 2 shown]
	v_add_co_ci_u32_e64 v95, null, 0, v95, vcc_lo
	buffer_store_dword v195, off, s[96:99], 0 offset:256 ; 4-byte Folded Spill
	buffer_store_dword v198, off, s[96:99], 0 offset:264 ; 4-byte Folded Spill
	;; [unrolled: 1-line block ×53, first 2 shown]
	s_waitcnt vmcnt(1)
	v_add_co_u32 v57, vcc_lo, v57, s11
	v_add_co_ci_u32_e64 v97, null, 0, v97, vcc_lo
	v_add_co_u32 v98, vcc_lo, v98, s11
	v_add_co_ci_u32_e64 v99, null, 0, v99, vcc_lo
	v_add_co_u32 v100, vcc_lo, v100, s11
	s_waitcnt vmcnt(0)
	v_add_co_ci_u32_e64 v70, null, 0, v70, vcc_lo
	v_add_co_u32 v102, vcc_lo, v102, s11
	v_add_co_ci_u32_e64 v103, null, 0, v103, vcc_lo
	v_add_co_u32 v101, vcc_lo, v101, s11
	;; [unrolled: 2-line block ×4, first 2 shown]
	buffer_load_dword v194, off, s[96:99], 0 offset:536 ; 4-byte Folded Reload
	v_add_co_ci_u32_e64 v59, null, 0, v59, vcc_lo
	s_waitcnt vmcnt(0)
	v_add_co_u32 v194, vcc_lo, v194, s11
	v_add_co_ci_u32_e64 v195, null, 0, v196, vcc_lo
	buffer_load_dword v196, off, s[96:99], 0 offset:540 ; 4-byte Folded Reload
	v_add_co_u32 v198, vcc_lo, v199, s11
	buffer_load_dword v199, off, s[96:99], 0 offset:544 ; 4-byte Folded Reload
	v_add_co_ci_u32_e64 v197, null, 0, v202, vcc_lo
	buffer_load_dword v202, off, s[96:99], 0 offset:548 ; 4-byte Folded Reload
	s_waitcnt vmcnt(2)
	v_add_co_u32 v196, vcc_lo, v196, s11
	s_waitcnt vmcnt(1)
	v_add_co_ci_u32_e64 v199, null, 0, v199, vcc_lo
	s_waitcnt vmcnt(0)
	v_add_co_u32 v202, vcc_lo, v202, s11
	v_add_co_ci_u32_e64 v191, null, 0, v200, vcc_lo
	buffer_load_dword v200, off, s[96:99], 0 offset:552 ; 4-byte Folded Reload
	s_waitcnt vmcnt(0)
	v_add_co_u32 v200, vcc_lo, v200, s11
	v_add_co_ci_u32_e64 v204, null, 0, v206, vcc_lo
	v_add_co_u32 v203, vcc_lo, v205, s11
	buffer_load_dword v206, off, s[96:99], 0 offset:560 ; 4-byte Folded Reload
	v_add_co_ci_u32_e64 v201, null, 0, v210, vcc_lo
	s_clause 0x1
	buffer_load_dword v210, off, s[96:99], 0 offset:564
	buffer_load_dword v205, off, s[96:99], 0 offset:556
	s_waitcnt vmcnt(0)
	v_add_co_u32 v205, vcc_lo, v205, s11
	v_add_co_ci_u32_e64 v206, null, 0, v206, vcc_lo
	v_add_co_u32 v210, vcc_lo, v210, s11
	v_add_co_ci_u32_e64 v207, null, 0, v208, vcc_lo
	buffer_load_dword v208, off, s[96:99], 0 offset:568 ; 4-byte Folded Reload
	s_waitcnt vmcnt(0)
	v_add_co_u32 v208, vcc_lo, v208, s11
	v_add_co_ci_u32_e64 v212, null, 0, v214, vcc_lo
	v_add_co_u32 v211, vcc_lo, v213, s11
	buffer_load_dword v214, off, s[96:99], 0 offset:576 ; 4-byte Folded Reload
	v_add_co_ci_u32_e64 v209, null, 0, v218, vcc_lo
	s_clause 0x1
	buffer_load_dword v218, off, s[96:99], 0 offset:580
	buffer_load_dword v213, off, s[96:99], 0 offset:572
	s_waitcnt vmcnt(0)
	v_add_co_u32 v213, vcc_lo, v213, s11
	v_add_co_ci_u32_e64 v214, null, 0, v214, vcc_lo
	v_add_co_u32 v218, vcc_lo, v218, s11
	v_add_co_ci_u32_e64 v215, null, 0, v216, vcc_lo
	buffer_load_dword v216, off, s[96:99], 0 offset:584 ; 4-byte Folded Reload
	s_waitcnt vmcnt(0)
	v_add_co_u32 v216, vcc_lo, v216, s11
	v_add_co_ci_u32_e64 v220, null, 0, v222, vcc_lo
	v_add_co_u32 v219, vcc_lo, v221, s11
	v_add_co_ci_u32_e64 v223, null, 0, v158, vcc_lo
	s_cbranch_scc1 .LBB27_30
; %bb.28:                               ;   in Loop: Header=BB27_15 Depth=1
	buffer_store_dword v110, off, s[96:99], 0 offset:536 ; 4-byte Folded Spill
	buffer_store_dword v108, off, s[96:99], 0 offset:528 ; 4-byte Folded Spill
	;; [unrolled: 1-line block ×35, first 2 shown]
	v_mov_b32_e32 v221, v17
	v_mov_b32_e32 v189, v16
	;; [unrolled: 1-line block ×3, first 2 shown]
	s_clause 0x10
	buffer_load_dword v54, off, s[96:99], 0 offset:592
	buffer_load_dword v2, off, s[96:99], 0 offset:632
	;; [unrolled: 1-line block ×17, first 2 shown]
	v_mov_b32_e32 v59, v23
	v_mov_b32_e32 v222, v24
	;; [unrolled: 1-line block ×3, first 2 shown]
	s_branch .LBB27_15
.LBB27_29:
	v_mov_b32_e32 v25, 0
	v_mov_b32_e32 v9, 0xfeffffff
	;; [unrolled: 1-line block ×5, first 2 shown]
	s_branch .LBB27_31
.LBB27_30:
	s_clause 0x5
	buffer_load_dword v32, off, s[96:99], 0 offset:700
	buffer_load_dword v33, off, s[96:99], 0 offset:696
	;; [unrolled: 1-line block ×6, first 2 shown]
	v_mbcnt_lo_u32_b32 v34, -1, 0
.LBB27_31:
	s_waitcnt vmcnt(5)
	v_or_b32_e32 v0, s7, v32
	s_cmp_lg_u64 s[68:69], 0
	s_cselect_b32 s1, -1, 0
	v_cmp_eq_u32_e32 vcc_lo, 0, v0
	s_and_b32 s2, vcc_lo, s1
	s_and_saveexec_b32 s1, s2
	s_cbranch_execz .LBB27_33
; %bb.32:
	s_lshl_b64 s[2:3], s[82:83], 2
	s_waitcnt vmcnt(0)
	v_max_f32_e32 v0, v9, v9
	s_add_u32 s2, s68, s2
	s_addc_u32 s3, s69, s3
	s_load_dword s2, s[2:3], 0x0
	s_waitcnt lgkmcnt(0)
	v_max_f32_e64 v1, s2, s2
	v_max_f32_e32 v0, v0, v1
	v_sub_f32_e32 v1, v9, v0
	v_sub_f32_e32 v2, s2, v0
	v_mov_b32_e32 v9, v0
	v_mul_f32_e32 v3, 0x3fb8aa3b, v1
	v_mul_f32_e32 v4, 0x3fb8aa3b, v2
	v_cmp_ngt_f32_e32 vcc_lo, 0xc2ce8ed0, v1
	v_fma_f32 v5, 0x3fb8aa3b, v1, -v3
	v_rndne_f32_e32 v6, v3
	v_fma_f32 v7, 0x3fb8aa3b, v2, -v4
	v_rndne_f32_e32 v8, v4
	v_fmac_f32_e32 v5, 0x32a5705f, v1
	v_sub_f32_e32 v3, v3, v6
	v_fmac_f32_e32 v7, 0x32a5705f, v2
	v_sub_f32_e32 v4, v4, v8
	v_add_f32_e32 v3, v3, v5
	v_cvt_i32_f32_e32 v5, v6
	v_add_f32_e32 v4, v4, v7
	v_cvt_i32_f32_e32 v6, v8
	v_exp_f32_e32 v3, v3
	v_exp_f32_e32 v4, v4
	v_ldexp_f32 v3, v3, v5
	v_ldexp_f32 v4, v4, v6
	v_cndmask_b32_e32 v3, 0, v3, vcc_lo
	v_cmp_ngt_f32_e32 vcc_lo, 0xc2ce8ed0, v2
	v_cndmask_b32_e32 v4, 0, v4, vcc_lo
	v_cmp_nlt_f32_e32 vcc_lo, 0x42b17218, v1
	v_cndmask_b32_e32 v1, 0x7f800000, v3, vcc_lo
	v_cmp_nlt_f32_e32 vcc_lo, 0x42b17218, v2
	v_mov_b32_e32 v3, 0x10001
	v_cndmask_b32_e32 v2, 0x7f800000, v4, vcc_lo
	v_cmp_eq_u32_e32 vcc_lo, 0, v33
	v_cvt_f16_f32_e32 v4, v1
	v_cndmask_b32_e32 v2, 0, v2, vcc_lo
	v_mul_u32_u24_sdwa v3, v4, v3 dst_sel:DWORD dst_unused:UNUSED_PAD src0_sel:WORD_0 src1_sel:DWORD
	v_fmac_f32_e32 v2, v21, v1
	v_pk_mul_f16 v25, v25, v3
	v_pk_mul_f16 v110, v110, v3
	;; [unrolled: 1-line block ×4, first 2 shown]
	v_mov_b32_e32 v21, v2
.LBB27_33:
	s_or_b32 exec_lo, exec_lo, s1
	s_and_saveexec_b32 s1, s0
	s_cbranch_execz .LBB27_35
; %bb.34:
	v_mov_b32_e32 v0, 0xfeffffff
	v_mov_b32_e32 v1, 0
	s_waitcnt vmcnt(2)
	v_add_nc_u32_e32 v2, 0x800, v20
	ds_write2_b32 v2, v0, v1 offset1:32
.LBB27_35:
	s_or_b32 exec_lo, exec_lo, s1
	s_waitcnt vmcnt(4)
	v_cmp_eq_u32_e32 vcc_lo, 0, v33
	v_lshlrev_b32_e32 v1, 2, v32
	s_waitcnt vmcnt(0) lgkmcnt(0)
	s_waitcnt_vscnt null, 0x0
	s_barrier
	buffer_gl0_inv
	s_and_saveexec_b32 s0, vcc_lo
; %bb.36:
	ds_write_b32 v1, v9 offset:2048
; %bb.37:
	s_or_b32 exec_lo, exec_lo, s0
	s_waitcnt lgkmcnt(0)
	s_barrier
	buffer_gl0_inv
	ds_read_b32 v0, v20 offset:2048
	v_xor_b32_e32 v2, 16, v34
	v_xor_b32_e32 v4, 8, v34
	;; [unrolled: 1-line block ×5, first 2 shown]
	v_cmp_gt_i32_e64 s0, 32, v2
	s_load_dword s1, s[4:5], 0xd4
	v_lshlrev_b32_e32 v13, 3, v33
	v_cndmask_b32_e64 v2, v34, v2, s0
	v_cmp_gt_i32_e64 s0, 32, v4
	v_lshl_add_u32 v13, v32, 9, v13
	v_lshlrev_b32_e32 v3, 2, v2
	v_cndmask_b32_e64 v4, v34, v4, s0
	v_cmp_gt_i32_e64 s0, 32, v5
	s_waitcnt lgkmcnt(0)
	ds_bpermute_b32 v2, v3, v0
	v_max_f32_e32 v0, v0, v0
	v_lshlrev_b32_e32 v4, 2, v4
	v_cndmask_b32_e64 v5, v34, v5, s0
	v_cmp_gt_i32_e64 s0, 32, v6
	v_lshlrev_b32_e32 v5, 2, v5
	v_cndmask_b32_e64 v6, v34, v6, s0
	v_cmp_gt_i32_e64 s0, 32, v7
	v_lshlrev_b32_e32 v6, 2, v6
	v_cndmask_b32_e64 v7, v34, v7, s0
	s_waitcnt lgkmcnt(0)
	v_max_f32_e32 v2, v2, v2
	v_max_f32_e32 v0, v0, v2
	ds_bpermute_b32 v2, v4, v0
	s_waitcnt lgkmcnt(0)
	v_max_f32_e32 v2, v2, v2
	v_max_f32_e32 v0, v0, v2
	ds_bpermute_b32 v2, v5, v0
	;; [unrolled: 4-line block ×3, first 2 shown]
	s_waitcnt lgkmcnt(0)
	v_max_f32_e32 v8, v0, v0
	v_lshlrev_b32_e32 v0, 2, v7
	v_max_f32_e32 v2, v2, v8
	ds_bpermute_b32 v7, v0, v2
	s_waitcnt lgkmcnt(0)
	v_max_f32_e32 v7, v7, v7
	v_max_f32_e32 v2, v2, v7
	v_sub_f32_e32 v7, v9, v2
	v_mul_f32_e32 v8, 0x3fb8aa3b, v7
	v_cmp_ngt_f32_e64 s0, 0xc2ce8ed0, v7
	v_fma_f32 v9, 0x3fb8aa3b, v7, -v8
	v_rndne_f32_e32 v10, v8
	v_fmamk_f32 v9, v7, 0x32a5705f, v9
	v_sub_f32_e32 v8, v8, v10
	v_add_f32_e32 v8, v8, v9
	v_cvt_i32_f32_e32 v9, v10
	v_mov_b32_e32 v10, 0x10001
	v_exp_f32_e32 v8, v8
	v_ldexp_f32 v8, v8, v9
	v_cndmask_b32_e64 v8, 0, v8, s0
	v_cmp_nlt_f32_e64 s0, 0x42b17218, v7
	v_cndmask_b32_e64 v8, 0x7f800000, v8, s0
	v_mul_f32_e32 v7, v21, v8
	ds_bpermute_b32 v7, v3, v7
	s_waitcnt lgkmcnt(0)
	v_fmac_f32_e32 v7, v21, v8
	ds_bpermute_b32 v9, v4, v7
	s_waitcnt lgkmcnt(0)
	v_add_f32_e32 v7, v7, v9
	ds_bpermute_b32 v9, v5, v7
	s_waitcnt lgkmcnt(0)
	v_add_f32_e32 v7, v7, v9
	;; [unrolled: 3-line block ×3, first 2 shown]
	v_cvt_f16_f32_e32 v9, v8
	ds_bpermute_b32 v8, v0, v7
	v_mul_u32_u24_sdwa v12, v9, v10 dst_sel:DWORD dst_unused:UNUSED_PAD src0_sel:WORD_0 src1_sel:DWORD
	v_pk_mul_f16 v9, v25, v12
	v_pk_mul_f16 v10, v110, v12
	;; [unrolled: 1-line block ×4, first 2 shown]
	ds_write2_b64 v13, v[9:10], v[11:12] offset1:32
	s_and_saveexec_b32 s0, vcc_lo
	s_cbranch_execz .LBB27_39
; %bb.38:
	s_waitcnt lgkmcnt(1)
	v_add_f32_e32 v7, v7, v8
	ds_write_b32 v1, v7 offset:2176
.LBB27_39:
	s_or_b32 exec_lo, exec_lo, s0
	s_waitcnt lgkmcnt(0)
	s_barrier
	buffer_gl0_inv
	buffer_load_dword v11, off, s[96:99], 0 offset:608 ; 4-byte Folded Reload
	ds_read_b32 v1, v20 offset:2176
	s_mul_i32 s2, s92, s80
	s_mov_b32 s3, 0
	s_add_i32 s2, s2, s6
	s_mul_i32 s2, s2, s81
	s_add_i32 s2, s2, s82
	s_mul_i32 s2, s1, s2
	s_add_i32 s2, s2, s7
	s_cmp_eq_u32 s1, 1
	s_waitcnt lgkmcnt(0)
	ds_bpermute_b32 v3, v3, v1
	s_waitcnt lgkmcnt(0)
	v_add_f32_e32 v1, v1, v3
	ds_bpermute_b32 v3, v4, v1
	s_waitcnt lgkmcnt(0)
	v_add_f32_e32 v1, v1, v3
	;; [unrolled: 3-line block ×3, first 2 shown]
	ds_bpermute_b32 v3, v6, v1
	s_waitcnt vmcnt(0)
	ds_read_u16 v4, v11
	ds_read_u16 v5, v11 offset:1792
	ds_read_u16 v6, v11 offset:1280
	;; [unrolled: 1-line block ×7, first 2 shown]
	s_waitcnt lgkmcnt(8)
	v_add_f32_e32 v1, v1, v3
	ds_bpermute_b32 v0, v0, v1
	s_waitcnt lgkmcnt(8)
	v_cvt_f32_f16_e32 v3, v4
	s_waitcnt lgkmcnt(7)
	v_cvt_f32_f16_e32 v5, v5
	;; [unrolled: 2-line block ×6, first 2 shown]
	v_add_f32_e32 v3, 0, v3
	s_waitcnt lgkmcnt(2)
	v_cvt_f32_f16_e32 v9, v10
	v_add_f32_e32 v4, 0, v4
	v_add_f32_e32 v3, v3, v8
	;; [unrolled: 1-line block ×3, first 2 shown]
	s_waitcnt lgkmcnt(1)
	v_cvt_f32_f16_e32 v7, v11
	v_add_f32_e32 v3, v3, v9
	v_add_f32_e32 v4, v4, v6
	;; [unrolled: 1-line block ×3, first 2 shown]
	s_waitcnt lgkmcnt(0)
	v_add_f32_e32 v3, v1, v0
	v_add_f32_e32 v7, v4, v5
	v_div_scale_f32 v0, null, v3, v3, v6
	v_div_scale_f32 v4, null, v3, v3, v7
	v_div_scale_f32 v10, vcc_lo, v6, v3, v6
	v_rcp_f32_e32 v5, v0
	v_rcp_f32_e32 v8, v4
	v_div_scale_f32 v11, s0, v7, v3, v7
	v_fma_f32 v1, -v0, v5, 1.0
	v_fma_f32 v9, -v4, v8, 1.0
	v_fmac_f32_e32 v5, v1, v5
	v_fmac_f32_e32 v8, v9, v8
	v_mul_f32_e32 v9, v10, v5
	v_mul_f32_e32 v12, v11, v8
	v_fma_f32 v1, -v0, v9, v10
	v_fma_f32 v13, -v4, v12, v11
	v_fmac_f32_e32 v9, v1, v5
	v_fmac_f32_e32 v12, v13, v8
	v_mov_b32_e32 v1, 0
	v_fma_f32 v10, -v0, v9, v10
	v_lshl_or_b32 v0, s2, 8, v19
	v_fma_f32 v4, -v4, v12, v11
	v_div_fmas_f32 v9, v10, v5, v9
	s_mov_b32 vcc_lo, s0
	v_div_fmas_f32 v8, v4, v8, v12
	v_lshlrev_b64 v[4:5], 2, v[0:1]
	v_div_fixup_f32 v0, v9, v3, v6
	v_cmp_eq_u32_e32 vcc_lo, 0, v19
	v_div_fixup_f32 v8, v8, v3, v7
	v_add_co_u32 v4, s0, s72, v4
	v_add_co_ci_u32_e64 v5, null, s73, v5, s0
	s_cselect_b32 s0, -1, 0
	s_cmp_lg_u32 s1, 1
	v_cndmask_b32_e64 v0, v6, v0, s0
	v_cndmask_b32_e64 v6, v7, v8, s0
	s_cselect_b32 s0, -1, 0
	s_and_b32 s0, vcc_lo, s0
	global_store_dword v[4:5], v0, off
	global_store_dword v[4:5], v6, off offset:512
	s_and_saveexec_b32 s1, s0
	s_cbranch_execz .LBB27_41
; %bb.40:
	s_lshl_b64 s[0:1], s[2:3], 3
	s_add_u32 s0, s74, s0
	s_addc_u32 s1, s75, s1
	global_store_dwordx2 v1, v[2:3], s[0:1]
.LBB27_41:
	s_endpgm
	.section	.rodata,"a",@progbits
	.p2align	6, 0x0
	.amdhsa_kernel _ZL18flash_attn_ext_vecILi256ELi1EL9ggml_type2ELS0_2ELb1EEvPKcS2_S2_S2_S2_PKiPfP15HIP_vector_typeIfLj2EEffffjfiS6_IjLj3EEiiiiiiiiiiiliiliiiiil
		.amdhsa_group_segment_fixed_size 2304
		.amdhsa_private_segment_fixed_size 716
		.amdhsa_kernarg_size 464
		.amdhsa_user_sgpr_count 6
		.amdhsa_user_sgpr_private_segment_buffer 1
		.amdhsa_user_sgpr_dispatch_ptr 0
		.amdhsa_user_sgpr_queue_ptr 0
		.amdhsa_user_sgpr_kernarg_segment_ptr 1
		.amdhsa_user_sgpr_dispatch_id 0
		.amdhsa_user_sgpr_flat_scratch_init 0
		.amdhsa_user_sgpr_private_segment_size 0
		.amdhsa_wavefront_size32 1
		.amdhsa_uses_dynamic_stack 0
		.amdhsa_system_sgpr_private_segment_wavefront_offset 1
		.amdhsa_system_sgpr_workgroup_id_x 1
		.amdhsa_system_sgpr_workgroup_id_y 1
		.amdhsa_system_sgpr_workgroup_id_z 1
		.amdhsa_system_sgpr_workgroup_info 0
		.amdhsa_system_vgpr_workitem_id 1
		.amdhsa_next_free_vgpr 256
		.amdhsa_next_free_sgpr 100
		.amdhsa_reserve_vcc 1
		.amdhsa_reserve_flat_scratch 0
		.amdhsa_float_round_mode_32 0
		.amdhsa_float_round_mode_16_64 0
		.amdhsa_float_denorm_mode_32 3
		.amdhsa_float_denorm_mode_16_64 3
		.amdhsa_dx10_clamp 1
		.amdhsa_ieee_mode 1
		.amdhsa_fp16_overflow 0
		.amdhsa_workgroup_processor_mode 1
		.amdhsa_memory_ordered 1
		.amdhsa_forward_progress 1
		.amdhsa_shared_vgpr_count 0
		.amdhsa_exception_fp_ieee_invalid_op 0
		.amdhsa_exception_fp_denorm_src 0
		.amdhsa_exception_fp_ieee_div_zero 0
		.amdhsa_exception_fp_ieee_overflow 0
		.amdhsa_exception_fp_ieee_underflow 0
		.amdhsa_exception_fp_ieee_inexact 0
		.amdhsa_exception_int_div_zero 0
	.end_amdhsa_kernel
	.section	.text._ZL18flash_attn_ext_vecILi256ELi1EL9ggml_type2ELS0_2ELb1EEvPKcS2_S2_S2_S2_PKiPfP15HIP_vector_typeIfLj2EEffffjfiS6_IjLj3EEiiiiiiiiiiiliiliiiiil,"axG",@progbits,_ZL18flash_attn_ext_vecILi256ELi1EL9ggml_type2ELS0_2ELb1EEvPKcS2_S2_S2_S2_PKiPfP15HIP_vector_typeIfLj2EEffffjfiS6_IjLj3EEiiiiiiiiiiiliiliiiiil,comdat
.Lfunc_end27:
	.size	_ZL18flash_attn_ext_vecILi256ELi1EL9ggml_type2ELS0_2ELb1EEvPKcS2_S2_S2_S2_PKiPfP15HIP_vector_typeIfLj2EEffffjfiS6_IjLj3EEiiiiiiiiiiiliiliiiiil, .Lfunc_end27-_ZL18flash_attn_ext_vecILi256ELi1EL9ggml_type2ELS0_2ELb1EEvPKcS2_S2_S2_S2_PKiPfP15HIP_vector_typeIfLj2EEffffjfiS6_IjLj3EEiiiiiiiiiiiliiliiiiil
                                        ; -- End function
	.set _ZL18flash_attn_ext_vecILi256ELi1EL9ggml_type2ELS0_2ELb1EEvPKcS2_S2_S2_S2_PKiPfP15HIP_vector_typeIfLj2EEffffjfiS6_IjLj3EEiiiiiiiiiiiliiliiiiil.num_vgpr, 256
	.set _ZL18flash_attn_ext_vecILi256ELi1EL9ggml_type2ELS0_2ELb1EEvPKcS2_S2_S2_S2_PKiPfP15HIP_vector_typeIfLj2EEffffjfiS6_IjLj3EEiiiiiiiiiiiliiliiiiil.num_agpr, 0
	.set _ZL18flash_attn_ext_vecILi256ELi1EL9ggml_type2ELS0_2ELb1EEvPKcS2_S2_S2_S2_PKiPfP15HIP_vector_typeIfLj2EEffffjfiS6_IjLj3EEiiiiiiiiiiiliiliiiiil.numbered_sgpr, 100
	.set _ZL18flash_attn_ext_vecILi256ELi1EL9ggml_type2ELS0_2ELb1EEvPKcS2_S2_S2_S2_PKiPfP15HIP_vector_typeIfLj2EEffffjfiS6_IjLj3EEiiiiiiiiiiiliiliiiiil.num_named_barrier, 0
	.set _ZL18flash_attn_ext_vecILi256ELi1EL9ggml_type2ELS0_2ELb1EEvPKcS2_S2_S2_S2_PKiPfP15HIP_vector_typeIfLj2EEffffjfiS6_IjLj3EEiiiiiiiiiiiliiliiiiil.private_seg_size, 716
	.set _ZL18flash_attn_ext_vecILi256ELi1EL9ggml_type2ELS0_2ELb1EEvPKcS2_S2_S2_S2_PKiPfP15HIP_vector_typeIfLj2EEffffjfiS6_IjLj3EEiiiiiiiiiiiliiliiiiil.uses_vcc, 1
	.set _ZL18flash_attn_ext_vecILi256ELi1EL9ggml_type2ELS0_2ELb1EEvPKcS2_S2_S2_S2_PKiPfP15HIP_vector_typeIfLj2EEffffjfiS6_IjLj3EEiiiiiiiiiiiliiliiiiil.uses_flat_scratch, 0
	.set _ZL18flash_attn_ext_vecILi256ELi1EL9ggml_type2ELS0_2ELb1EEvPKcS2_S2_S2_S2_PKiPfP15HIP_vector_typeIfLj2EEffffjfiS6_IjLj3EEiiiiiiiiiiiliiliiiiil.has_dyn_sized_stack, 0
	.set _ZL18flash_attn_ext_vecILi256ELi1EL9ggml_type2ELS0_2ELb1EEvPKcS2_S2_S2_S2_PKiPfP15HIP_vector_typeIfLj2EEffffjfiS6_IjLj3EEiiiiiiiiiiiliiliiiiil.has_recursion, 0
	.set _ZL18flash_attn_ext_vecILi256ELi1EL9ggml_type2ELS0_2ELb1EEvPKcS2_S2_S2_S2_PKiPfP15HIP_vector_typeIfLj2EEffffjfiS6_IjLj3EEiiiiiiiiiiiliiliiiiil.has_indirect_call, 0
	.section	.AMDGPU.csdata,"",@progbits
; Kernel info:
; codeLenInByte = 40340
; TotalNumSgprs: 102
; NumVgprs: 256
; ScratchSize: 716
; MemoryBound: 0
; FloatMode: 240
; IeeeMode: 1
; LDSByteSize: 2304 bytes/workgroup (compile time only)
; SGPRBlocks: 0
; VGPRBlocks: 31
; NumSGPRsForWavesPerEU: 102
; NumVGPRsForWavesPerEU: 256
; Occupancy: 4
; WaveLimiterHint : 0
; COMPUTE_PGM_RSRC2:SCRATCH_EN: 1
; COMPUTE_PGM_RSRC2:USER_SGPR: 6
; COMPUTE_PGM_RSRC2:TRAP_HANDLER: 0
; COMPUTE_PGM_RSRC2:TGID_X_EN: 1
; COMPUTE_PGM_RSRC2:TGID_Y_EN: 1
; COMPUTE_PGM_RSRC2:TGID_Z_EN: 1
; COMPUTE_PGM_RSRC2:TIDIG_COMP_CNT: 1
	.section	.text._ZL18flash_attn_ext_vecILi256ELi2EL9ggml_type2ELS0_2ELb0EEvPKcS2_S2_S2_S2_PKiPfP15HIP_vector_typeIfLj2EEffffjfiS6_IjLj3EEiiiiiiiiiiiliiliiiiil,"axG",@progbits,_ZL18flash_attn_ext_vecILi256ELi2EL9ggml_type2ELS0_2ELb0EEvPKcS2_S2_S2_S2_PKiPfP15HIP_vector_typeIfLj2EEffffjfiS6_IjLj3EEiiiiiiiiiiiliiliiiiil,comdat
	.globl	_ZL18flash_attn_ext_vecILi256ELi2EL9ggml_type2ELS0_2ELb0EEvPKcS2_S2_S2_S2_PKiPfP15HIP_vector_typeIfLj2EEffffjfiS6_IjLj3EEiiiiiiiiiiiliiliiiiil ; -- Begin function _ZL18flash_attn_ext_vecILi256ELi2EL9ggml_type2ELS0_2ELb0EEvPKcS2_S2_S2_S2_PKiPfP15HIP_vector_typeIfLj2EEffffjfiS6_IjLj3EEiiiiiiiiiiiliiliiiiil
	.p2align	8
	.type	_ZL18flash_attn_ext_vecILi256ELi2EL9ggml_type2ELS0_2ELb0EEvPKcS2_S2_S2_S2_PKiPfP15HIP_vector_typeIfLj2EEffffjfiS6_IjLj3EEiiiiiiiiiiiliiliiiiil,@function
_ZL18flash_attn_ext_vecILi256ELi2EL9ggml_type2ELS0_2ELb0EEvPKcS2_S2_S2_S2_PKiPfP15HIP_vector_typeIfLj2EEffffjfiS6_IjLj3EEiiiiiiiiiiiliiliiiiil: ; @_ZL18flash_attn_ext_vecILi256ELi2EL9ggml_type2ELS0_2ELb0EEvPKcS2_S2_S2_S2_PKiPfP15HIP_vector_typeIfLj2EEffffjfiS6_IjLj3EEiiiiiiiiiiiliiliiiiil
; %bb.0:
	s_clause 0x2
	s_load_dwordx2 s[70:71], s[6:7], 0x64
	s_load_dwordx2 s[16:17], s[6:7], 0x80
	s_load_dwordx2 s[18:19], s[6:7], 0xb8
	v_mov_b32_e32 v39, v0
	s_mov_b64 s[98:99], s[2:3]
	s_mov_b64 s[96:97], s[0:1]
	s_mov_b32 s68, s9
	s_add_u32 s96, s96, s11
	s_addc_u32 s97, s97, 0
	v_mov_b32_e32 v36, v1
	s_load_dwordx4 s[12:15], s[6:7], 0x40
	s_waitcnt lgkmcnt(0)
	v_cvt_f32_u32_e32 v0, s71
	s_sub_i32 s1, 0, s71
	v_rcp_iflag_f32_e32 v0, v0
	v_mul_f32_e32 v0, 0x4f7ffffe, v0
	v_cvt_u32_f32_e32 v0, v0
	v_readfirstlane_b32 s0, v0
	s_mul_i32 s1, s1, s0
	s_mul_hi_u32 s1, s0, s1
	s_add_i32 s0, s0, s1
	s_mul_hi_u32 s0, s10, s0
	s_mul_i32 s1, s0, s71
	s_add_i32 s2, s0, 1
	s_sub_i32 s1, s10, s1
	s_sub_i32 s3, s1, s71
	s_cmp_ge_u32 s1, s71
	s_cselect_b32 s0, s2, s0
	s_cselect_b32 s1, s3, s1
	s_add_i32 s2, s0, 1
	s_cmp_ge_u32 s1, s71
	s_cselect_b32 s69, s2, s0
	s_abs_i32 s0, s17
	s_abs_i32 s9, s71
	v_cvt_f32_u32_e32 v0, s0
	s_sub_i32 s2, 0, s0
	s_xor_b32 s3, s71, s17
	s_ashr_i32 s3, s3, 31
	v_rcp_iflag_f32_e32 v0, v0
	v_mul_f32_e32 v0, 0x4f7ffffe, v0
	v_cvt_u32_f32_e32 v0, v0
	v_readfirstlane_b32 s1, v0
	s_mul_i32 s2, s2, s1
	s_mul_hi_u32 s2, s1, s2
	s_add_i32 s1, s1, s2
	s_mul_i32 s2, s69, s71
	s_mul_hi_u32 s1, s9, s1
	s_sub_i32 s72, s10, s2
	s_mul_i32 s11, s1, s0
	s_sub_i32 s2, s9, s11
	s_add_i32 s9, s1, 1
	s_sub_i32 s10, s2, s0
	s_cmp_ge_u32 s2, s0
	s_cselect_b32 s1, s9, s1
	s_cselect_b32 s2, s10, s2
	s_add_i32 s9, s1, 1
	s_cmp_ge_u32 s2, s0
	s_cselect_b32 s0, s9, s1
	s_abs_i32 s9, s18
	s_xor_b32 s0, s0, s3
	v_cvt_f32_u32_e32 v0, s9
	s_sub_i32 s11, s0, s3
	s_load_dword s0, s[6:7], 0x50
	s_abs_i32 s10, s11
	v_cmp_le_f32_e64 s1, s13, 0
	v_cvt_f32_u32_e32 v1, s10
	v_rcp_iflag_f32_e32 v0, v0
	s_and_b32 vcc_lo, exec_lo, s1
	v_rcp_iflag_f32_e32 v1, v1
	v_mul_f32_e32 v0, 0x4f7ffffe, v0
	v_mul_f32_e32 v1, 0x4f7ffffe, v1
	v_cvt_u32_f32_e32 v0, v0
	v_cvt_u32_f32_e32 v1, v1
	v_readfirstlane_b32 s13, v0
	v_mov_b32_e32 v0, 1.0
	v_readfirstlane_b32 s17, v1
	buffer_store_dword v0, off, s[96:99], 0 offset:324 ; 4-byte Folded Spill
	s_cbranch_vccnz .LBB28_2
; %bb.1:
	s_waitcnt lgkmcnt(0)
	v_sub_co_u32 v1, vcc_lo, s72, s0
	v_mov_b32_e32 v0, s14
	s_add_i32 s0, s72, 1
	v_lshlrev_b32_e32 v1, 1, v1
	v_cndmask_b32_e32 v0, s15, v0, vcc_lo
	v_or_b32_e32 v1, 1, v1
	v_cndmask_b32_e64 v1, v1, s0, vcc_lo
	v_cmp_neq_f32_e32 vcc_lo, 1.0, v0
	s_mov_b32 s0, 0x3e76c4e1
	v_cvt_f32_i32_e32 v1, v1
	v_cndmask_b32_e32 v3, 1.0, v1, vcc_lo
	v_cmp_neq_f32_e32 vcc_lo, 0, v3
	v_cndmask_b32_e32 v4, 1.0, v0, vcc_lo
	v_frexp_mant_f32_e64 v0, |v4|
	v_cmp_eq_f32_e64 s2, 0, v4
	v_cmp_gt_f32_e32 vcc_lo, 0x3f2aaaab, v0
	v_cndmask_b32_e64 v1, 1.0, 2.0, vcc_lo
	v_mul_f32_e32 v0, v0, v1
	v_add_f32_e32 v1, 1.0, v0
	v_add_f32_e32 v6, -1.0, v0
	v_rcp_f32_e32 v5, v1
	v_add_f32_e32 v8, -1.0, v1
	v_sub_f32_e32 v0, v0, v8
	v_mul_f32_e32 v7, v6, v5
	v_mul_f32_e32 v9, v1, v7
	v_fma_f32 v1, v7, v1, -v9
	v_fmac_f32_e32 v1, v7, v0
	v_add_f32_e32 v0, v9, v1
	v_sub_f32_e32 v8, v6, v0
	v_sub_f32_e32 v9, v0, v9
	;; [unrolled: 1-line block ×5, first 2 shown]
	v_add_f32_e32 v0, v1, v0
	v_add_f32_e32 v0, v8, v0
	v_mul_f32_e32 v0, v5, v0
	v_add_f32_e32 v5, v7, v0
	v_sub_f32_e32 v1, v5, v7
	v_mul_f32_e32 v6, v5, v5
	v_sub_f32_e32 v7, v0, v1
	v_fma_f32 v0, v5, v5, -v6
	v_add_f32_e32 v1, v7, v7
	v_fmac_f32_e32 v0, v5, v1
	v_add_f32_e32 v8, v6, v0
	v_fmaak_f32 v1, s0, v8, 0x3e91f4c4
	v_sub_f32_e32 v6, v8, v6
	v_mul_f32_e32 v13, v5, v8
	v_fmaak_f32 v1, v8, v1, 0x3ecccdef
	v_sub_f32_e32 v6, v0, v6
	v_fma_f32 v14, v8, v5, -v13
	v_mul_f32_e32 v9, v8, v1
	v_fmac_f32_e32 v14, v8, v7
	v_ldexp_f32 v7, v7, 1
	v_fma_f32 v10, v8, v1, -v9
	v_fmac_f32_e32 v14, v6, v5
	v_fmac_f32_e32 v10, v6, v1
	v_cvt_f64_f32_e64 v[0:1], |v4|
	v_add_f32_e32 v11, v9, v10
	v_sub_f32_e32 v9, v11, v9
	v_add_f32_e32 v12, 0x3f2aaaaa, v11
	v_sub_f32_e32 v9, v10, v9
	v_add_f32_e32 v10, 0xbf2aaaaa, v12
	v_add_f32_e32 v9, 0x31739010, v9
	v_sub_f32_e32 v10, v11, v10
	v_frexp_exp_i32_f64_e32 v0, v[0:1]
	v_add_f32_e32 v8, v9, v10
	v_add_f32_e32 v9, v13, v14
	;; [unrolled: 1-line block ×3, first 2 shown]
	v_sub_f32_e32 v11, v9, v13
	v_sub_f32_e32 v1, v12, v6
	v_mul_f32_e32 v10, v9, v6
	v_sub_f32_e32 v11, v14, v11
	v_add_f32_e32 v1, v8, v1
	v_fma_f32 v8, v9, v6, -v10
	v_subrev_co_ci_u32_e64 v0, null, 0, v0, vcc_lo
	v_fmac_f32_e32 v8, v9, v1
	v_ldexp_f32 v1, v5, 1
	v_cvt_f32_i32_e32 v0, v0
	v_fmac_f32_e32 v8, v11, v6
	v_add_f32_e32 v5, v10, v8
	v_add_f32_e32 v6, v1, v5
	v_sub_f32_e32 v9, v5, v10
	v_mul_f32_e32 v10, 0x3f317218, v0
	v_sub_f32_e32 v1, v6, v1
	v_sub_f32_e32 v8, v8, v9
	v_fma_f32 v9, 0x3f317218, v0, -v10
	v_sub_f32_e32 v1, v5, v1
	v_add_f32_e32 v5, v7, v8
	v_fmamk_f32 v0, v0, 0xb102e308, v9
	v_add_f32_e32 v1, v5, v1
	v_add_f32_e32 v5, v10, v0
	;; [unrolled: 1-line block ×3, first 2 shown]
	v_sub_f32_e32 v10, v5, v10
	v_add_f32_e32 v8, v5, v7
	v_sub_f32_e32 v6, v7, v6
	v_sub_f32_e32 v0, v0, v10
	;; [unrolled: 1-line block ×6, first 2 shown]
	v_add_f32_e32 v7, v0, v1
	v_sub_f32_e32 v5, v5, v11
	v_add_f32_e32 v5, v6, v5
	v_sub_f32_e32 v6, v7, v0
	;; [unrolled: 2-line block ×3, first 2 shown]
	v_sub_f32_e32 v1, v1, v6
	v_add_f32_e32 v9, v8, v5
	v_sub_f32_e32 v0, v0, v7
	v_sub_f32_e32 v6, v9, v8
	v_add_f32_e32 v0, v1, v0
	v_sub_f32_e32 v1, v5, v6
	v_add_f32_e32 v0, v0, v1
	v_add_f32_e32 v1, v9, v0
	v_sub_f32_e32 v5, v1, v9
	v_mul_f32_e32 v6, v3, v1
	v_sub_f32_e32 v0, v0, v5
	v_fma_f32 v1, v3, v1, -v6
	v_cmp_class_f32_e64 vcc_lo, v6, 0x204
	v_fmac_f32_e32 v1, v3, v0
	v_add_f32_e32 v0, v6, v1
	v_cndmask_b32_e32 v5, v0, v6, vcc_lo
	v_sub_f32_e32 v0, v0, v6
	v_cmp_eq_f32_e32 vcc_lo, 0x42b17218, v5
	v_sub_f32_e32 v0, v1, v0
	v_cndmask_b32_e64 v7, 0, 0x37000000, vcc_lo
	v_cmp_neq_f32_e64 vcc_lo, 0x7f800000, |v5|
	v_sub_f32_e32 v8, v5, v7
	v_cndmask_b32_e32 v0, 0, v0, vcc_lo
	v_trunc_f32_e32 v5, v3
	v_mul_f32_e32 v9, 0x3fb8aa3b, v8
	v_cmp_ngt_f32_e32 vcc_lo, 0xc2ce8ed0, v8
	v_add_f32_e32 v0, v7, v0
	v_fma_f32 v10, 0x3fb8aa3b, v8, -v9
	v_rndne_f32_e32 v11, v9
	v_fmamk_f32 v10, v8, 0x32a5705f, v10
	v_sub_f32_e32 v9, v9, v11
	v_cvt_i32_f32_e32 v6, v11
	v_add_f32_e32 v9, v9, v10
	v_exp_f32_e32 v9, v9
	v_ldexp_f32 v1, v9, v6
	v_mul_f32_e32 v6, 0.5, v3
	v_cndmask_b32_e32 v1, 0, v1, vcc_lo
	v_cmp_nlt_f32_e32 vcc_lo, 0x42b17218, v8
	v_trunc_f32_e32 v9, v6
	v_cndmask_b32_e32 v1, 0x7f800000, v1, vcc_lo
	v_cmp_eq_f32_e32 vcc_lo, v5, v3
	v_cmp_neq_f32_e64 s0, v9, v6
	v_fma_f32 v0, v1, v0, v1
	v_cmp_class_f32_e64 s1, v1, 0x204
	s_and_b32 s0, vcc_lo, s0
	v_cndmask_b32_e64 v5, 1.0, v4, s0
	v_cndmask_b32_e64 v0, v0, v1, s1
	v_cmp_gt_f32_e64 s1, 0, v3
	v_bfi_b32 v0, 0x7fffffff, v0, v5
	s_xor_b32 s1, s1, s2
	v_cndmask_b32_e64 v5, 0, v4, s0
	v_cndmask_b32_e64 v1, 0x7f800000, 0, s1
	v_cmp_class_f32_e64 s0, v4, 0x204
	v_cndmask_b32_e32 v3, 0x7fc00000, v0, vcc_lo
	v_cmp_gt_f32_e32 vcc_lo, 0, v4
	v_bfi_b32 v1, 0x7fffffff, v1, v5
	v_cndmask_b32_e32 v0, v0, v3, vcc_lo
	s_or_b32 vcc_lo, s2, s0
	v_cndmask_b32_e32 v0, v0, v1, vcc_lo
	v_cmp_o_f32_e32 vcc_lo, v4, v4
	v_cndmask_b32_e32 v0, 0x7fc00000, v0, vcc_lo
	buffer_store_dword v0, off, s[96:99], 0 offset:324 ; 4-byte Folded Spill
.LBB28_2:
	s_waitcnt lgkmcnt(0)
	s_load_dwordx2 s[0:1], s[4:5], 0x4
	s_load_dwordx16 s[48:63], s[6:7], 0x0
	v_mov_b32_e32 v1, 0
	v_lshlrev_b32_e32 v37, 9, v36
	v_lshlrev_b32_e32 v38, 2, v39
	s_lshl_b32 s84, s8, 1
	s_mov_b32 s5, exec_lo
	s_waitcnt lgkmcnt(0)
	v_mul_u32_u24_e32 v0, s1, v36
	s_lshr_b32 s0, s0, 16
	s_mul_i32 s0, s0, s1
	v_mad_u32_u24 v0, s0, v39, v0
	v_cmp_lt_u32_e64 s0, 1, v36
	v_add_lshl_u32 v34, v0, v2, 5
	v_add_nc_u32_e32 v0, 0xa04, v34
	v_add_nc_u32_e32 v2, 0xa0c, v34
	v_add_nc_u32_e32 v3, 0xa14, v34
	v_add_nc_u32_e32 v4, 0x800, v34
	ds_write2_b32 v0, v1, v1 offset1:1
	ds_write2_b32 v2, v1, v1 offset1:1
	;; [unrolled: 1-line block ×3, first 2 shown]
	ds_write2_b32 v4, v1, v1 offset0:128 offset1:135
	v_cmpx_gt_u32_e32 2, v36
	s_cbranch_execz .LBB28_17
; %bb.3:
	v_lshl_add_u32 v4, v39, 3, v37
	v_sub_nc_u32_e32 v3, 0, v38
	v_or_b32_e32 v2, s84, v36
	v_or_b32_e32 v0, v37, v39
	s_mov_b32 s1, exec_lo
	v_add_nc_u32_e32 v6, v4, v3
	v_cmpx_le_i32_e64 s70, v2
	s_xor_b32 s1, exec_lo, s1
	s_cbranch_execz .LBB28_7
; %bb.4:
	v_mov_b32_e32 v2, 0
	v_mad_u32_u24 v0, v39, 3, v0
	s_mov_b32 s2, exec_lo
	ds_write_b32 v6, v2
	ds_write_b32 v0, v2 offset:128
	v_cmpx_gt_u32_e32 8, v39
; %bb.5:
	v_mov_b32_e32 v3, v2
	ds_write_b64 v4, v[2:3] offset:256
; %bb.6:
	s_or_b32 exec_lo, exec_lo, s2
                                        ; implicit-def: $vgpr6
                                        ; implicit-def: $vgpr0
.LBB28_7:
	s_andn2_saveexec_b32 s1, s1
	s_cbranch_execz .LBB28_17
; %bb.8:
	s_load_dwordx4 s[20:23], s[6:7], 0x70
	v_lshlrev_b32_e32 v3, 2, v38
	s_mov_b32 s4, exec_lo
	s_waitcnt lgkmcnt(0)
	v_mul_lo_u32 v2, s20, v36
	s_mul_i32 s1, s69, s22
	s_mul_i32 s2, s20, s84
	;; [unrolled: 1-line block ×3, first 2 shown]
	s_add_i32 s1, s1, s2
	s_add_i32 s1, s1, s3
	s_ashr_i32 s2, s1, 31
	v_ashrrev_i32_e32 v4, 31, v2
	s_add_u32 s1, s48, s1
	s_addc_u32 s2, s49, s2
	v_add_co_u32 v2, vcc_lo, s1, v2
	v_add_co_ci_u32_e64 v4, null, s2, v4, vcc_lo
	v_add_co_u32 v2, vcc_lo, v2, v3
	v_add_co_ci_u32_e64 v3, null, 0, v4, vcc_lo
	v_mbcnt_lo_u32_b32 v4, -1, 0
	global_load_dwordx4 v[15:18], v[2:3], off
	v_xor_b32_e32 v5, 4, v4
	v_xor_b32_e32 v9, 2, v4
	;; [unrolled: 1-line block ×3, first 2 shown]
	v_cmp_gt_i32_e32 vcc_lo, 32, v5
	v_cndmask_b32_e32 v5, v4, v5, vcc_lo
	v_cmp_gt_i32_e32 vcc_lo, 32, v9
	v_lshlrev_b32_e32 v7, 2, v5
	v_cndmask_b32_e32 v9, v4, v9, vcc_lo
	v_cmp_gt_i32_e32 vcc_lo, 32, v11
	v_lshlrev_b32_e32 v9, 2, v9
	v_cndmask_b32_e32 v4, v4, v11, vcc_lo
	s_waitcnt vmcnt(0)
	v_mul_f32_e32 v10, s12, v15
	v_mul_f32_e32 v12, s12, v16
	;; [unrolled: 1-line block ×4, first 2 shown]
	v_max_f32_e64 v8, |v10|, |v12|
	v_max3_f32 v5, v8, |v14|, |v13|
	ds_bpermute_b32 v8, v7, v5
	s_waitcnt lgkmcnt(0)
	v_max_f32_e32 v8, v8, v8
	v_max_f32_e32 v5, v5, v8
	ds_bpermute_b32 v8, v9, v5
	s_waitcnt lgkmcnt(0)
	v_max_f32_e32 v11, v8, v8
	v_lshlrev_b32_e32 v8, 2, v4
	v_max_f32_e32 v4, v5, v11
	v_fma_f32 v11, s12, v15, v12
	ds_bpermute_b32 v5, v8, v4
	v_fmac_f32_e32 v11, s12, v17
	v_fmac_f32_e32 v11, s12, v18
	ds_bpermute_b32 v15, v7, v11
	s_waitcnt lgkmcnt(1)
	v_max_f32_e32 v5, v5, v5
	v_max_f32_e32 v4, v4, v5
	v_div_scale_f32 v16, null, 0x42fe0000, 0x42fe0000, v4
	s_waitcnt lgkmcnt(0)
	v_add_f32_e32 v5, v11, v15
	v_div_scale_f32 v18, vcc_lo, v4, 0x42fe0000, v4
	v_rcp_f32_e32 v17, v16
	ds_bpermute_b32 v15, v9, v5
	v_fma_f32 v11, -v16, v17, 1.0
	v_fmac_f32_e32 v17, v11, v17
	v_mul_f32_e32 v19, v18, v17
	s_waitcnt lgkmcnt(0)
	v_add_f32_e32 v5, v5, v15
	v_fma_f32 v11, -v16, v19, v18
	v_fmac_f32_e32 v19, v11, v17
	ds_bpermute_b32 v11, v8, v5
	v_fma_f32 v15, -v16, v19, v18
	v_div_fmas_f32 v15, v15, v17, v19
	v_div_fixup_f32 v4, v15, 0x42fe0000, v4
	v_mov_b32_e32 v15, 0
	v_cmpx_neq_f32_e32 0, v4
	s_cbranch_execz .LBB28_10
; %bb.9:
	v_div_scale_f32 v15, null, v4, v4, v10
	v_div_scale_f32 v16, null, v4, v4, v12
	;; [unrolled: 1-line block ×3, first 2 shown]
	v_rcp_f32_e32 v17, v15
	v_div_scale_f32 v19, null, v4, v4, v13
	v_rcp_f32_e32 v20, v16
	v_rcp_f32_e32 v21, v18
	v_div_scale_f32 v25, vcc_lo, v10, v4, v10
	v_rcp_f32_e32 v22, v19
	v_fma_f32 v23, -v15, v17, 1.0
	v_fma_f32 v24, -v16, v20, 1.0
	;; [unrolled: 1-line block ×3, first 2 shown]
	v_fmac_f32_e32 v17, v23, v17
	v_div_scale_f32 v23, s1, v12, v4, v12
	v_fma_f32 v27, -v19, v22, 1.0
	v_fmac_f32_e32 v20, v24, v20
	v_fmac_f32_e32 v21, v26, v21
	v_div_scale_f32 v24, s2, v14, v4, v14
	v_fmac_f32_e32 v22, v27, v22
	v_mul_f32_e32 v27, v25, v17
	v_mul_f32_e32 v28, v23, v20
	v_mul_f32_e32 v29, v24, v21
	v_div_scale_f32 v26, s3, v13, v4, v13
	v_fma_f32 v31, -v15, v27, v25
	v_fma_f32 v32, -v16, v28, v23
	;; [unrolled: 1-line block ×3, first 2 shown]
	v_mul_f32_e32 v30, v26, v22
	v_fmac_f32_e32 v27, v31, v17
	v_fmac_f32_e32 v28, v32, v20
	v_fmac_f32_e32 v29, v33, v21
	v_fma_f32 v35, -v19, v30, v26
	v_fma_f32 v15, -v15, v27, v25
	;; [unrolled: 1-line block ×4, first 2 shown]
	v_fmac_f32_e32 v30, v35, v22
	v_div_fmas_f32 v15, v15, v17, v27
	s_mov_b32 vcc_lo, s1
	v_div_fmas_f32 v16, v16, v20, v28
	s_mov_b32 vcc_lo, s2
	v_div_fixup_f32 v10, v15, v4, v10
	v_div_fmas_f32 v17, v18, v21, v29
	v_fma_f32 v18, -v19, v30, v26
	s_mov_b32 vcc_lo, s3
	v_div_fixup_f32 v12, v16, v4, v12
	v_div_fixup_f32 v14, v17, v4, v14
	v_div_fmas_f32 v17, v18, v22, v30
	v_trunc_f32_e32 v16, v12
	v_trunc_f32_e32 v18, v14
	v_div_fixup_f32 v13, v17, v4, v13
	v_trunc_f32_e32 v17, v10
	v_sub_f32_e32 v20, v12, v16
	v_sub_f32_e32 v15, v14, v18
	v_trunc_f32_e32 v19, v13
	v_sub_f32_e32 v22, v10, v17
	v_cmp_ge_f32_e64 s1, |v15|, 0.5
	v_sub_f32_e32 v21, v13, v19
	v_cndmask_b32_e64 v15, 0, 1.0, s1
	v_cmp_ge_f32_e64 s1, |v20|, 0.5
	v_bfi_b32 v14, 0x7fffffff, v15, v14
	v_cndmask_b32_e64 v15, 0, 1.0, s1
	v_cmp_ge_f32_e64 s1, |v21|, 0.5
	v_add_f32_e32 v14, v18, v14
	v_bfi_b32 v12, 0x7fffffff, v15, v12
	v_cndmask_b32_e64 v20, 0, 1.0, s1
	v_cmp_ge_f32_e64 s1, |v22|, 0.5
	v_mov_b32_e32 v15, 8
	v_cvt_i32_f32_e32 v14, v14
	v_add_f32_e32 v12, v16, v12
	v_bfi_b32 v13, 0x7fffffff, v20, v13
	v_cndmask_b32_e64 v18, 0, 1.0, s1
	v_and_b32_e32 v14, 0xff, v14
	v_cvt_i32_f32_e32 v12, v12
	v_add_f32_e32 v13, v19, v13
	v_bfi_b32 v10, 0x7fffffff, v18, v10
	v_lshlrev_b32_e32 v14, 16, v14
	v_lshlrev_b32_sdwa v12, v15, v12 dst_sel:DWORD dst_unused:UNUSED_PAD src0_sel:DWORD src1_sel:BYTE_0
	v_cvt_i32_f32_e32 v13, v13
	v_add_f32_e32 v10, v17, v10
	v_lshl_or_b32 v13, v13, 24, v14
	v_cvt_i32_f32_e32 v10, v10
	v_and_b32_e32 v10, 0xff, v10
	v_or3_b32 v15, v13, v12, v10
.LBB28_10:
	s_or_b32 exec_lo, exec_lo, s4
	v_and_b32_e32 v10, 7, v39
	ds_write_b32 v6, v15
	v_cmp_eq_u32_e64 s1, 0, v10
	s_and_saveexec_b32 s2, s1
	s_cbranch_execz .LBB28_12
; %bb.11:
	s_waitcnt lgkmcnt(1)
	v_add_f32_e32 v5, v5, v11
	ds_write_b64 v0, v[4:5] offset:256
.LBB28_12:
	s_or_b32 exec_lo, exec_lo, s2
	global_load_dwordx4 v[13:16], v[2:3], off offset:512
	s_waitcnt vmcnt(0)
	v_mul_f32_e32 v5, s12, v13
	v_mul_f32_e32 v10, s12, v14
	;; [unrolled: 1-line block ×3, first 2 shown]
	s_waitcnt lgkmcnt(1)
	v_mul_f32_e32 v11, s12, v16
	v_max_f32_e64 v2, |v5|, |v10|
	v_fma_f32 v4, s12, v13, v10
	v_max3_f32 v2, v2, |v12|, |v11|
	v_fmac_f32_e32 v4, s12, v15
	ds_bpermute_b32 v3, v7, v2
	v_fmac_f32_e32 v4, s12, v16
	s_mov_b32 s12, exec_lo
	ds_bpermute_b32 v7, v7, v4
	s_waitcnt lgkmcnt(1)
	v_max_f32_e32 v3, v3, v3
	v_max_f32_e32 v2, v2, v3
	ds_bpermute_b32 v3, v9, v2
	s_waitcnt lgkmcnt(0)
	v_max_f32_e32 v3, v3, v3
	v_max_f32_e32 v2, v2, v3
	;; [unrolled: 4-line block ×3, first 2 shown]
	v_add_f32_e32 v3, v4, v7
	v_div_scale_f32 v13, null, 0x42fe0000, 0x42fe0000, v2
	ds_bpermute_b32 v7, v9, v3
	v_div_scale_f32 v9, vcc_lo, v2, 0x42fe0000, v2
	v_rcp_f32_e32 v14, v13
	v_fma_f32 v4, -v13, v14, 1.0
	v_fmac_f32_e32 v14, v4, v14
	s_waitcnt lgkmcnt(0)
	v_add_f32_e32 v3, v3, v7
	v_mul_f32_e32 v15, v9, v14
	v_fma_f32 v4, -v13, v15, v9
	v_fmac_f32_e32 v15, v4, v14
	ds_bpermute_b32 v4, v8, v3
	v_fma_f32 v7, -v13, v15, v9
	v_div_fmas_f32 v7, v7, v14, v15
	v_div_fixup_f32 v2, v7, 0x42fe0000, v2
	v_mov_b32_e32 v7, 0
	v_cmpx_neq_f32_e32 0, v2
	s_cbranch_execz .LBB28_14
; %bb.13:
	v_div_scale_f32 v7, null, v2, v2, v5
	v_div_scale_f32 v8, null, v2, v2, v10
	;; [unrolled: 1-line block ×3, first 2 shown]
	v_rcp_f32_e32 v9, v7
	v_div_scale_f32 v14, null, v2, v2, v11
	v_rcp_f32_e32 v15, v8
	v_rcp_f32_e32 v16, v13
	v_div_scale_f32 v20, vcc_lo, v5, v2, v5
	v_rcp_f32_e32 v17, v14
	v_fma_f32 v18, -v7, v9, 1.0
	v_fma_f32 v19, -v8, v15, 1.0
	;; [unrolled: 1-line block ×3, first 2 shown]
	v_fmac_f32_e32 v9, v18, v9
	v_div_scale_f32 v18, s2, v10, v2, v10
	v_fma_f32 v22, -v14, v17, 1.0
	v_fmac_f32_e32 v15, v19, v15
	v_fmac_f32_e32 v16, v21, v16
	v_div_scale_f32 v19, s3, v12, v2, v12
	v_fmac_f32_e32 v17, v22, v17
	v_mul_f32_e32 v22, v20, v9
	v_mul_f32_e32 v23, v18, v15
	;; [unrolled: 1-line block ×3, first 2 shown]
	v_div_scale_f32 v21, s4, v11, v2, v11
	v_fma_f32 v26, -v7, v22, v20
	v_fma_f32 v27, -v8, v23, v18
	;; [unrolled: 1-line block ×3, first 2 shown]
	v_mul_f32_e32 v25, v21, v17
	v_fmac_f32_e32 v22, v26, v9
	v_fmac_f32_e32 v23, v27, v15
	;; [unrolled: 1-line block ×3, first 2 shown]
	v_fma_f32 v29, -v14, v25, v21
	v_fma_f32 v7, -v7, v22, v20
	;; [unrolled: 1-line block ×4, first 2 shown]
	v_fmac_f32_e32 v25, v29, v17
	v_div_fmas_f32 v7, v7, v9, v22
	s_mov_b32 vcc_lo, s2
	v_div_fmas_f32 v8, v8, v15, v23
	s_mov_b32 vcc_lo, s3
	v_div_fixup_f32 v5, v7, v2, v5
	v_div_fmas_f32 v9, v13, v16, v24
	v_fma_f32 v13, -v14, v25, v21
	s_mov_b32 vcc_lo, s4
	v_div_fixup_f32 v8, v8, v2, v10
	v_div_fixup_f32 v9, v9, v2, v12
	v_div_fmas_f32 v12, v13, v17, v25
	v_trunc_f32_e32 v13, v9
	v_div_fixup_f32 v7, v12, v2, v11
	v_trunc_f32_e32 v11, v8
	v_trunc_f32_e32 v12, v5
	v_sub_f32_e32 v10, v9, v13
	v_trunc_f32_e32 v14, v7
	v_sub_f32_e32 v15, v8, v11
	v_sub_f32_e32 v17, v5, v12
	v_cmp_ge_f32_e64 s2, |v10|, 0.5
	v_sub_f32_e32 v16, v7, v14
	v_cndmask_b32_e64 v10, 0, 1.0, s2
	v_cmp_ge_f32_e64 s2, |v15|, 0.5
	v_bfi_b32 v9, 0x7fffffff, v10, v9
	v_cndmask_b32_e64 v10, 0, 1.0, s2
	v_cmp_ge_f32_e64 s2, |v16|, 0.5
	v_add_f32_e32 v9, v13, v9
	v_bfi_b32 v8, 0x7fffffff, v10, v8
	v_cndmask_b32_e64 v15, 0, 1.0, s2
	v_cmp_ge_f32_e64 s2, |v17|, 0.5
	v_mov_b32_e32 v10, 8
	v_cvt_i32_f32_e32 v9, v9
	v_add_f32_e32 v8, v11, v8
	v_bfi_b32 v7, 0x7fffffff, v15, v7
	v_cndmask_b32_e64 v13, 0, 1.0, s2
	v_and_b32_e32 v9, 0xff, v9
	v_cvt_i32_f32_e32 v8, v8
	v_add_f32_e32 v7, v14, v7
	v_bfi_b32 v5, 0x7fffffff, v13, v5
	v_lshlrev_b32_e32 v9, 16, v9
	v_lshlrev_b32_sdwa v8, v10, v8 dst_sel:DWORD dst_unused:UNUSED_PAD src0_sel:DWORD src1_sel:BYTE_0
	v_cvt_i32_f32_e32 v7, v7
	v_add_f32_e32 v5, v12, v5
	v_lshl_or_b32 v7, v7, 24, v9
	v_cvt_i32_f32_e32 v5, v5
	v_and_b32_e32 v5, 0xff, v5
	v_or3_b32 v7, v7, v8, v5
.LBB28_14:
	s_or_b32 exec_lo, exec_lo, s12
	ds_write_b32 v6, v7 offset:128
	s_and_saveexec_b32 s2, s1
	s_cbranch_execz .LBB28_16
; %bb.15:
	s_waitcnt lgkmcnt(1)
	v_add_f32_e32 v3, v3, v4
	ds_write_b64 v0, v[2:3] offset:288
.LBB28_16:
	s_or_b32 exec_lo, exec_lo, s2
.LBB28_17:
	s_or_b32 exec_lo, exec_lo, s5
	v_and_b32_e32 v35, 1, v39
	s_waitcnt lgkmcnt(0)
	s_waitcnt_vscnt null, 0x0
	s_barrier
	buffer_gl0_inv
	s_cmp_eq_u64 s[58:59], 0
	v_lshlrev_b32_e32 v0, 2, v35
	s_mov_b32 s73, s16
	ds_read2_b32 v[2:3], v0 offset1:2
	s_waitcnt lgkmcnt(0)
	buffer_store_dword v2, off, s[96:99], 0 offset:328 ; 4-byte Folded Spill
	buffer_store_dword v3, off, s[96:99], 0 offset:332 ; 4-byte Folded Spill
	ds_read2_b32 v[2:3], v0 offset0:4 offset1:6
	s_waitcnt lgkmcnt(0)
	buffer_store_dword v2, off, s[96:99], 0 offset:336 ; 4-byte Folded Spill
	buffer_store_dword v3, off, s[96:99], 0 offset:340 ; 4-byte Folded Spill
	ds_read2_b32 v[2:3], v0 offset0:8 offset1:10
	s_waitcnt lgkmcnt(0)
	buffer_store_dword v2, off, s[96:99], 0 offset:344 ; 4-byte Folded Spill
	buffer_store_dword v3, off, s[96:99], 0 offset:348 ; 4-byte Folded Spill
	ds_read2_b32 v[2:3], v0 offset0:12 offset1:14
	s_waitcnt lgkmcnt(0)
	buffer_store_dword v2, off, s[96:99], 0 offset:352 ; 4-byte Folded Spill
	buffer_store_dword v3, off, s[96:99], 0 offset:356 ; 4-byte Folded Spill
	ds_read2_b32 v[2:3], v0 offset0:16 offset1:18
	s_waitcnt lgkmcnt(0)
	buffer_store_dword v2, off, s[96:99], 0 offset:360 ; 4-byte Folded Spill
	buffer_store_dword v3, off, s[96:99], 0 offset:364 ; 4-byte Folded Spill
	ds_read2_b32 v[2:3], v0 offset0:20 offset1:22
	s_waitcnt lgkmcnt(0)
	buffer_store_dword v2, off, s[96:99], 0 offset:368 ; 4-byte Folded Spill
	buffer_store_dword v3, off, s[96:99], 0 offset:372 ; 4-byte Folded Spill
	ds_read2_b32 v[2:3], v0 offset0:24 offset1:26
	s_waitcnt lgkmcnt(0)
	buffer_store_dword v2, off, s[96:99], 0 offset:376 ; 4-byte Folded Spill
	buffer_store_dword v3, off, s[96:99], 0 offset:380 ; 4-byte Folded Spill
	ds_read2_b32 v[2:3], v0 offset0:28 offset1:30
	s_waitcnt lgkmcnt(0)
	buffer_store_dword v2, off, s[96:99], 0 offset:384 ; 4-byte Folded Spill
	buffer_store_dword v3, off, s[96:99], 0 offset:388 ; 4-byte Folded Spill
	ds_read2_b32 v[2:3], v0 offset0:32 offset1:34
	s_waitcnt lgkmcnt(0)
	buffer_store_dword v2, off, s[96:99], 0 offset:392 ; 4-byte Folded Spill
	buffer_store_dword v3, off, s[96:99], 0 offset:396 ; 4-byte Folded Spill
	ds_read2_b32 v[2:3], v0 offset0:36 offset1:38
	s_waitcnt lgkmcnt(0)
	buffer_store_dword v2, off, s[96:99], 0 offset:400 ; 4-byte Folded Spill
	buffer_store_dword v3, off, s[96:99], 0 offset:404 ; 4-byte Folded Spill
	ds_read2_b32 v[2:3], v0 offset0:40 offset1:42
	s_waitcnt lgkmcnt(0)
	buffer_store_dword v2, off, s[96:99], 0 offset:408 ; 4-byte Folded Spill
	buffer_store_dword v3, off, s[96:99], 0 offset:412 ; 4-byte Folded Spill
	ds_read2_b32 v[2:3], v0 offset0:44 offset1:46
	s_waitcnt lgkmcnt(0)
	buffer_store_dword v2, off, s[96:99], 0 offset:416 ; 4-byte Folded Spill
	buffer_store_dword v3, off, s[96:99], 0 offset:420 ; 4-byte Folded Spill
	ds_read2_b32 v[2:3], v0 offset0:48 offset1:50
	s_waitcnt lgkmcnt(0)
	buffer_store_dword v2, off, s[96:99], 0 offset:424 ; 4-byte Folded Spill
	buffer_store_dword v3, off, s[96:99], 0 offset:428 ; 4-byte Folded Spill
	ds_read2_b32 v[2:3], v0 offset0:52 offset1:54
	s_waitcnt lgkmcnt(0)
	buffer_store_dword v2, off, s[96:99], 0 offset:432 ; 4-byte Folded Spill
	buffer_store_dword v3, off, s[96:99], 0 offset:436 ; 4-byte Folded Spill
	ds_read2_b32 v[2:3], v0 offset0:56 offset1:58
	s_waitcnt lgkmcnt(0)
	buffer_store_dword v2, off, s[96:99], 0 offset:440 ; 4-byte Folded Spill
	buffer_store_dword v3, off, s[96:99], 0 offset:444 ; 4-byte Folded Spill
	ds_read2_b32 v[2:3], v0 offset0:60 offset1:62
	s_waitcnt lgkmcnt(0)
	buffer_store_dword v2, off, s[96:99], 0 offset:448 ; 4-byte Folded Spill
	buffer_store_dword v3, off, s[96:99], 0 offset:452 ; 4-byte Folded Spill
	ds_read2_b32 v[2:3], v0 offset0:128 offset1:130
	s_waitcnt lgkmcnt(0)
	buffer_store_dword v2, off, s[96:99], 0 offset:456 ; 4-byte Folded Spill
	buffer_store_dword v3, off, s[96:99], 0 offset:460 ; 4-byte Folded Spill
	ds_read2_b32 v[2:3], v0 offset0:132 offset1:134
	s_waitcnt lgkmcnt(0)
	buffer_store_dword v2, off, s[96:99], 0 offset:464 ; 4-byte Folded Spill
	buffer_store_dword v3, off, s[96:99], 0 offset:468 ; 4-byte Folded Spill
	ds_read2_b32 v[2:3], v0 offset0:136 offset1:138
	s_waitcnt lgkmcnt(0)
	buffer_store_dword v2, off, s[96:99], 0 offset:472 ; 4-byte Folded Spill
	buffer_store_dword v3, off, s[96:99], 0 offset:476 ; 4-byte Folded Spill
	ds_read2_b32 v[2:3], v0 offset0:140 offset1:142
	s_waitcnt lgkmcnt(0)
	buffer_store_dword v2, off, s[96:99], 0 offset:480 ; 4-byte Folded Spill
	buffer_store_dword v3, off, s[96:99], 0 offset:484 ; 4-byte Folded Spill
	ds_read2_b32 v[2:3], v0 offset0:144 offset1:146
	s_waitcnt lgkmcnt(0)
	buffer_store_dword v2, off, s[96:99], 0 offset:488 ; 4-byte Folded Spill
	buffer_store_dword v3, off, s[96:99], 0 offset:492 ; 4-byte Folded Spill
	ds_read2_b32 v[2:3], v0 offset0:148 offset1:150
	s_waitcnt lgkmcnt(0)
	buffer_store_dword v2, off, s[96:99], 0 offset:496 ; 4-byte Folded Spill
	buffer_store_dword v3, off, s[96:99], 0 offset:500 ; 4-byte Folded Spill
	ds_read2_b32 v[2:3], v0 offset0:152 offset1:154
	s_waitcnt lgkmcnt(0)
	buffer_store_dword v2, off, s[96:99], 0 offset:504 ; 4-byte Folded Spill
	buffer_store_dword v3, off, s[96:99], 0 offset:508 ; 4-byte Folded Spill
	ds_read2_b32 v[2:3], v0 offset0:156 offset1:158
	s_waitcnt lgkmcnt(0)
	buffer_store_dword v2, off, s[96:99], 0 offset:512 ; 4-byte Folded Spill
	buffer_store_dword v3, off, s[96:99], 0 offset:516 ; 4-byte Folded Spill
	ds_read2_b32 v[2:3], v0 offset0:160 offset1:162
	s_waitcnt lgkmcnt(0)
	buffer_store_dword v2, off, s[96:99], 0 offset:520 ; 4-byte Folded Spill
	buffer_store_dword v3, off, s[96:99], 0 offset:524 ; 4-byte Folded Spill
	ds_read2_b32 v[2:3], v0 offset0:164 offset1:166
	s_waitcnt lgkmcnt(0)
	buffer_store_dword v2, off, s[96:99], 0 offset:528 ; 4-byte Folded Spill
	buffer_store_dword v3, off, s[96:99], 0 offset:532 ; 4-byte Folded Spill
	ds_read2_b32 v[2:3], v0 offset0:168 offset1:170
	s_waitcnt lgkmcnt(0)
	buffer_store_dword v2, off, s[96:99], 0 offset:536 ; 4-byte Folded Spill
	buffer_store_dword v3, off, s[96:99], 0 offset:540 ; 4-byte Folded Spill
	ds_read2_b32 v[2:3], v0 offset0:172 offset1:174
	s_waitcnt lgkmcnt(0)
	buffer_store_dword v2, off, s[96:99], 0 offset:544 ; 4-byte Folded Spill
	buffer_store_dword v3, off, s[96:99], 0 offset:548 ; 4-byte Folded Spill
	ds_read2_b32 v[2:3], v0 offset0:176 offset1:178
	s_waitcnt lgkmcnt(0)
	buffer_store_dword v2, off, s[96:99], 0 offset:552 ; 4-byte Folded Spill
	buffer_store_dword v3, off, s[96:99], 0 offset:556 ; 4-byte Folded Spill
	ds_read2_b32 v[2:3], v0 offset0:180 offset1:182
	s_waitcnt lgkmcnt(0)
	buffer_store_dword v2, off, s[96:99], 0 offset:560 ; 4-byte Folded Spill
	buffer_store_dword v3, off, s[96:99], 0 offset:564 ; 4-byte Folded Spill
	ds_read2_b32 v[2:3], v0 offset0:184 offset1:186
	s_waitcnt lgkmcnt(0)
	buffer_store_dword v2, off, s[96:99], 0 offset:568 ; 4-byte Folded Spill
	buffer_store_dword v3, off, s[96:99], 0 offset:572 ; 4-byte Folded Spill
	ds_read2_b32 v[2:3], v0 offset0:188 offset1:190
	s_waitcnt lgkmcnt(0)
	buffer_store_dword v2, off, s[96:99], 0 offset:576 ; 4-byte Folded Spill
	buffer_store_dword v3, off, s[96:99], 0 offset:580 ; 4-byte Folded Spill
	ds_read_b128 v[2:5], v1 offset:256
	ds_read_b128 v[6:9], v1 offset:272
	;; [unrolled: 1-line block ×8, first 2 shown]
	s_waitcnt lgkmcnt(0)
	s_waitcnt_vscnt null, 0x0
	s_barrier
	buffer_gl0_inv
	s_cbranch_scc1 .LBB28_19
; %bb.18:
	s_load_dword s1, s[6:7], 0xd0
	s_mov_b32 s3, 0
	s_waitcnt lgkmcnt(0)
	s_mul_i32 s1, s1, s69
	s_add_i32 s2, s1, s8
	s_lshl_b64 s[2:3], s[2:3], 2
	s_add_u32 s2, s58, s2
	s_addc_u32 s3, s59, s3
	s_load_dword s73, s[2:3], 0x0
.LBB28_19:
	v_lshlrev_b32_e32 v241, 5, v36
	v_add_nc_u32_e32 v127, 0xa00, v34
	s_mov_b32 s78, 0xfeffffff
	s_mov_b32 s80, 0
	;; [unrolled: 1-line block ×3, first 2 shown]
	v_add_nc_u32_e32 v34, v241, v39
	s_mov_b32 s81, s80
	v_mov_b32_e32 v78, s78
	v_mov_b32_e32 v40, s80
	;; [unrolled: 1-line block ×4, first 2 shown]
	v_lshlrev_b32_e32 v1, 1, v34
	s_lshl_b32 s58, s68, 7
	s_waitcnt lgkmcnt(0)
	s_cmp_ge_i32 s58, s73
	buffer_store_dword v1, off, s[96:99], 0 offset:1104 ; 4-byte Folded Spill
	s_cbranch_scc1 .LBB28_31
; %bb.20:
	buffer_store_dword v30, off, s[96:99], 0 offset:1244 ; 4-byte Folded Spill
	buffer_store_dword v31, off, s[96:99], 0 offset:1248 ; 4-byte Folded Spill
	;; [unrolled: 1-line block ×35, first 2 shown]
	s_clause 0x1
	s_load_dwordx4 s[64:67], s[6:7], 0x98
	s_load_dwordx2 s[82:83], s[6:7], 0x8c
	s_sub_i32 s1, 0, s10
	s_sub_i32 s2, 0, s9
	s_mul_i32 s1, s1, s17
	s_abs_i32 s3, s72
	s_mul_hi_u32 s1, s17, s1
	s_mul_i32 s2, s2, s13
	s_add_i32 s17, s17, s1
	s_ashr_i32 s4, s69, 31
	s_mul_hi_u32 s1, s13, s2
	s_mul_hi_u32 s2, s3, s17
	s_add_i32 s13, s13, s1
	s_mul_i32 s1, s2, s10
	s_ashr_i32 s8, s72, 31
	s_ashr_i32 s11, s11, 31
	s_sub_i32 s1, s3, s1
	s_abs_i32 s5, s69
	s_xor_b32 s8, s8, s11
	s_add_i32 s11, s2, 1
	s_waitcnt lgkmcnt(0)
	s_mul_hi_u32 s12, s64, s69
	s_mul_i32 s14, s64, s4
	s_mul_i32 s15, s65, s69
	s_add_i32 s86, s12, s14
	s_sub_i32 s3, s1, s10
	s_add_i32 s86, s86, s15
	s_cmp_ge_u32 s1, s10
	v_and_b32_e32 v34, 0x7e, v39
	s_cselect_b32 s2, s11, s2
	s_cselect_b32 s1, s3, s1
	s_add_i32 s3, s2, 1
	s_cmp_ge_u32 s1, s10
	s_load_dwordx2 s[10:11], s[6:7], 0xc8
	s_cselect_b32 s1, s3, s2
	s_mul_hi_u32 s2, s5, s13
	s_xor_b32 s1, s1, s8
	s_mul_i32 s2, s2, s9
	s_sub_i32 s89, s1, s8
	s_sub_i32 s1, s5, s2
	s_mul_i32 s87, s89, s83
	s_mul_i32 s89, s89, s67
	s_ashr_i32 s88, s87, 31
	s_ashr_i32 s90, s89, 31
	s_sub_i32 s2, s1, s9
	s_cmp_ge_u32 s1, s9
	s_load_dword s5, s[6:7], 0xd4
	s_cselect_b32 s1, s2, s1
	s_mul_i32 s65, s19, s84
	s_sub_i32 s2, s1, s9
	s_cmp_ge_u32 s1, s9
	v_add_nc_u32_e32 v64, v241, v34
	s_cselect_b32 s1, s2, s1
	s_load_dwordx2 s[2:3], s[6:7], 0xa8
	s_xor_b32 s1, s1, s4
	s_ashr_i32 s67, s65, 31
	s_sub_i32 s1, s1, s4
	v_add_nc_u32_e32 v36, s16, v64
	s_ashr_i32 s8, s1, 31
	s_waitcnt lgkmcnt(0)
	s_mul_hi_u32 s9, s10, s1
	s_mul_i32 s8, s10, s8
	s_mul_i32 s11, s11, s1
	s_add_i32 s8, s9, s8
	s_mul_i32 s10, s10, s1
	s_add_i32 s11, s8, s11
	s_cmp_lg_u64 s[54:55], 0
	v_ashrrev_i32_e32 v37, 31, v36
	s_cselect_b32 s1, -1, 0
	s_lshl_b32 s74, s5, 7
	s_cmp_lt_i32 s84, s70
	s_mov_b32 s59, s80
	s_cselect_b32 s5, -1, 0
	s_or_b32 s8, s84, 1
	s_and_b32 s83, s1, s5
	s_cmp_lt_i32 s8, s70
	v_mov_b32_e32 v79, v39
	s_cselect_b32 s5, -1, 0
	v_add_co_u32 v40, s8, s16, v64
	s_and_b32 s85, s1, s5
	s_ashr_i32 s5, s16, 31
	s_add_u32 s91, s50, s87
	v_cmp_eq_u32_e64 s1, 0, v35
	v_add_co_ci_u32_e64 v41, null, s5, 0, s8
	s_addc_u32 s92, s51, s88
	s_lshl_b64 s[8:9], s[58:59], 1
	v_lshlrev_b64 v[35:36], 1, v[36:37]
	s_add_u32 s5, s54, s8
	v_bfe_u32 v44, v79, 3, 27
	s_addc_u32 s12, s55, s9
	s_add_u32 s5, s5, s10
	s_addc_u32 s12, s12, s11
	v_add_co_u32 v7, vcc_lo, s5, v35
	buffer_store_dword v38, off, s[96:99], 0 offset:1276 ; 4-byte Folded Spill
	v_add_nc_u32_e32 v38, 0x80, v38
	v_add_co_ci_u32_e64 v6, null, s12, v36, vcc_lo
	v_mul_hi_u32_u24_e32 v36, 18, v44
	v_mul_u32_u24_e32 v35, 18, v44
	v_lshrrev_b32_e32 v46, 5, v38
	v_mul_lo_u32 v42, v241, s66
	s_mov_b32 s75, s80
	v_and_b32_e32 v47, 12, v38
	v_mad_u64_u32 v[44:45], null, s2, s69, v[35:36]
	s_lshl_b64 s[76:77], s[74:75], 1
	s_add_u32 s8, s10, s8
	v_lshlrev_b64 v[37:38], 1, v[40:41]
	s_addc_u32 s9, s11, s9
	s_mul_i32 s3, s3, s69
	s_mul_i32 s4, s2, s4
	v_mul_hi_u32_u24_e32 v41, 18, v46
	v_mul_u32_u24_e32 v40, 18, v46
	s_add_u32 s59, s54, s8
	s_addc_u32 s54, s55, s9
	s_add_i32 s4, s4, s3
	v_ashrrev_i32_e32 v43, 31, v42
	v_add_nc_u32_e32 v45, s4, v45
	v_add_co_u32 v2, vcc_lo, s5, v37
	v_mad_u64_u32 v[50:51], null, s2, s69, v[40:41]
	v_add_co_ci_u32_e64 v8, null, s12, v38, vcc_lo
	v_add_co_u32 v9, vcc_lo, v44, v42
	v_add_co_ci_u32_e64 v10, null, v45, v43, vcc_lo
	v_add_co_u32 v48, vcc_lo, v44, v47
	v_add_co_ci_u32_e64 v49, null, 0, v45, vcc_lo
	v_add_nc_u32_e32 v51, s4, v51
	v_add_co_u32 v11, vcc_lo, v48, v42
	v_add_co_ci_u32_e64 v12, null, v49, v43, vcc_lo
	v_add_co_u32 v56, vcc_lo, v50, v47
	v_add_co_ci_u32_e64 v57, null, 0, v51, vcc_lo
	v_add_co_u32 v17, vcc_lo, v50, v42
	v_add_nc_u32_e32 v54, s66, v42
	v_add_co_ci_u32_e64 v18, null, v51, v43, vcc_lo
	v_add_co_u32 v13, vcc_lo, v56, v42
	v_add_co_ci_u32_e64 v14, null, v57, v43, vcc_lo
	v_add_co_u32 v81, vcc_lo, v44, s89
	v_ashrrev_i32_e32 v55, 31, v54
	v_add_co_ci_u32_e64 v66, null, s90, v45, vcc_lo
	v_add_co_u32 v80, vcc_lo, v48, s89
	v_add_co_ci_u32_e64 v73, null, s90, v49, vcc_lo
	v_add_co_u32 v15, vcc_lo, v81, v54
	;; [unrolled: 2-line block ×3, first 2 shown]
	v_add_nc_u32_e32 v52, 31, v241
	v_add_co_ci_u32_e64 v20, null, v73, v55, vcc_lo
	v_add_co_u32 v85, vcc_lo, v50, s89
	v_add_co_ci_u32_e64 v83, null, s90, v51, vcc_lo
	v_mul_lo_u32 v62, s66, v52
	v_add_co_u32 v23, vcc_lo, v85, v54
	v_add_co_ci_u32_e64 v24, null, v83, v55, vcc_lo
	v_add_co_u32 v86, vcc_lo, v56, s89
	v_add_co_ci_u32_e64 v84, null, s90, v57, vcc_lo
	v_ashrrev_i32_e32 v57, 31, v62
	v_add_co_u32 v25, vcc_lo, v86, v54
	v_add_nc_u32_e32 v56, 30, v241
	v_add_co_ci_u32_e64 v26, null, v84, v55, vcc_lo
	v_add_co_u32 v21, vcc_lo, v86, v62
	v_add_co_ci_u32_e64 v22, null, v84, v57, vcc_lo
	v_add_co_u32 v29, vcc_lo, v85, v62
	v_mul_lo_u32 v63, s66, v56
	v_add_co_ci_u32_e64 v30, null, v83, v57, vcc_lo
	v_add_co_u32 v31, vcc_lo, v80, v62
	v_add_co_ci_u32_e64 v32, null, v73, v57, vcc_lo
	v_add_co_u32 v27, vcc_lo, v81, v62
	v_add_nc_u32_e32 v62, 29, v241
	v_ashrrev_i32_e32 v67, 31, v63
	v_add_co_ci_u32_e64 v28, null, v66, v57, vcc_lo
	v_add_co_u32 v77, vcc_lo, v86, v63
	v_mul_lo_u32 v74, s66, v62
	v_add_nc_u32_e32 v78, 28, v241
	v_add_co_ci_u32_e64 v71, null, v84, v67, vcc_lo
	v_add_co_u32 v82, vcc_lo, v85, v63
	v_add_co_ci_u32_e64 v93, null, v83, v67, vcc_lo
	v_add_co_u32 v109, vcc_lo, v80, v63
	v_ashrrev_i32_e32 v75, 31, v74
	v_mul_lo_u32 v87, s66, v78
	v_add_co_ci_u32_e64 v110, null, v73, v67, vcc_lo
	v_add_co_u32 v33, vcc_lo, v81, v63
	v_add_co_ci_u32_e64 v56, null, v66, v67, vcc_lo
	v_add_co_u32 v94, vcc_lo, v86, v74
	v_add_nc_u32_e32 v89, 27, v241
	v_add_co_ci_u32_e64 v101, null, v84, v75, vcc_lo
	v_add_co_u32 v132, vcc_lo, v85, v74
	v_add_co_ci_u32_e64 v135, null, v83, v75, vcc_lo
	v_add_co_u32 v165, vcc_lo, v80, v74
	v_ashrrev_i32_e32 v88, 31, v87
	v_mul_lo_u32 v89, s66, v89
	v_add_co_ci_u32_e64 v189, null, v73, v75, vcc_lo
	v_add_co_u32 v78, vcc_lo, v81, v74
	v_add_co_ci_u32_e64 v129, null, v66, v75, vcc_lo
	v_add_co_u32 v195, vcc_lo, v86, v87
	;; [unrolled: 11-line block ×3, first 2 shown]
	v_add_co_ci_u32_e64 v98, null, v84, v96, vcc_lo
	v_add_co_u32 v242, vcc_lo, v85, v89
	v_add_co_ci_u32_e64 v245, null, v83, v96, vcc_lo
	v_add_co_u32 v1, vcc_lo, v80, v89
	v_ashrrev_i32_e32 v104, 31, v95
	v_add_co_ci_u32_e64 v97, null, v73, v96, vcc_lo
	v_add_co_u32 v246, vcc_lo, v81, v89
	v_add_co_ci_u32_e64 v248, null, v66, v96, vcc_lo
	v_add_co_u32 v100, vcc_lo, v86, v95
	buffer_store_dword v1, off, s[96:99], 0 ; 4-byte Folded Spill
	v_add_co_ci_u32_e64 v99, null, v84, v104, vcc_lo
	v_add_co_u32 v1, vcc_lo, v85, v95
	v_add_nc_u32_e32 v103, 25, v241
	v_add_nc_u32_e32 v111, 24, v241
	;; [unrolled: 1-line block ×3, first 2 shown]
	buffer_store_dword v1, off, s[96:99], 0 offset:36 ; 4-byte Folded Spill
	v_add_co_ci_u32_e64 v1, null, v83, v104, vcc_lo
	v_mul_lo_u32 v103, s66, v103
	v_add_co_u32 v102, vcc_lo, v80, v95
	buffer_store_dword v1, off, s[96:99], 0 offset:40 ; 4-byte Folded Spill
	v_add_co_ci_u32_e64 v105, null, v73, v104, vcc_lo
	v_add_co_u32 v1, vcc_lo, v81, v95
	v_ashrrev_i32_e32 v112, 31, v103
	v_mul_lo_u32 v111, s66, v111
	v_mul_lo_u32 v118, s66, v118
	buffer_store_dword v1, off, s[96:99], 0 offset:44 ; 4-byte Folded Spill
	v_add_co_ci_u32_e64 v1, null, v66, v104, vcc_lo
	v_add_co_u32 v106, vcc_lo, v86, v103
	v_add_co_ci_u32_e64 v107, null, v84, v112, vcc_lo
	buffer_store_dword v1, off, s[96:99], 0 offset:48 ; 4-byte Folded Spill
	v_add_co_u32 v1, vcc_lo, v85, v103
	v_ashrrev_i32_e32 v119, 31, v111
	v_add_nc_u32_e32 v120, 22, v241
	v_add_nc_u32_e32 v121, 21, v241
	buffer_store_dword v1, off, s[96:99], 0 offset:52 ; 4-byte Folded Spill
	v_add_co_ci_u32_e64 v1, null, v83, v112, vcc_lo
	v_add_co_u32 v117, vcc_lo, v80, v103
	v_add_co_ci_u32_e64 v122, null, v73, v112, vcc_lo
	buffer_store_dword v1, off, s[96:99], 0 offset:56 ; 4-byte Folded Spill
	v_add_co_u32 v1, vcc_lo, v81, v103
	v_add_co_ci_u32_e64 v112, null, v66, v112, vcc_lo
	v_add_co_u32 v123, vcc_lo, v86, v111
	v_add_co_ci_u32_e64 v124, null, v84, v119, vcc_lo
	;; [unrolled: 2-line block ×4, first 2 shown]
	v_add_co_u32 v5, vcc_lo, v81, v111
	buffer_store_dword v1, off, s[96:99], 0 offset:200 ; 4-byte Folded Spill
	v_add_co_ci_u32_e64 v1, null, v66, v119, vcc_lo
	v_ashrrev_i32_e32 v119, 31, v118
	v_mul_lo_u32 v120, s66, v120
	v_add_co_u32 v133, vcc_lo, v86, v118
	v_add_nc_u32_e32 v197, s66, v54
	v_add_co_ci_u32_e64 v130, null, v84, v119, vcc_lo
	v_add_co_u32 v163, vcc_lo, v85, v118
	v_add_co_ci_u32_e64 v185, null, v83, v119, vcc_lo
	v_add_co_u32 v162, vcc_lo, v80, v118
	;; [unrolled: 2-line block ×3, first 2 shown]
	v_ashrrev_i32_e32 v118, 31, v120
	v_add_co_ci_u32_e64 v139, null, v66, v119, vcc_lo
	v_mul_lo_u32 v119, s66, v121
	v_add_co_u32 v140, vcc_lo, v86, v120
	v_add_co_ci_u32_e64 v141, null, v84, v118, vcc_lo
	v_add_co_u32 v142, vcc_lo, v85, v120
	v_add_co_ci_u32_e64 v143, null, v83, v118, vcc_lo
	;; [unrolled: 2-line block ×4, first 2 shown]
	v_ashrrev_i32_e32 v118, 31, v119
	v_add_co_u32 v148, vcc_lo, v86, v119
	v_add_nc_u32_e32 v121, 20, v241
	v_add_nc_u32_e32 v136, s66, v197
	v_add_co_ci_u32_e64 v149, null, v84, v118, vcc_lo
	v_add_co_u32 v150, vcc_lo, v85, v119
	v_add_co_ci_u32_e64 v151, null, v83, v118, vcc_lo
	v_add_co_u32 v152, vcc_lo, v80, v119
	;; [unrolled: 2-line block ×3, first 2 shown]
	v_mul_lo_u32 v120, s66, v121
	v_add_co_ci_u32_e64 v155, null, v66, v118, vcc_lo
	v_add_nc_u32_e32 v118, 19, v241
	buffer_store_dword v1, off, s[96:99], 0 offset:216 ; 4-byte Folded Spill
	v_ashrrev_i32_e32 v239, 31, v136
	v_ashrrev_i32_e32 v235, 31, v197
	v_add_co_u32 v63, s40, v81, v197
	v_mul_lo_u32 v118, s66, v118
	v_ashrrev_i32_e32 v119, 31, v120
	v_add_co_u32 v156, vcc_lo, v85, v120
	v_add_co_u32 v157, s2, v80, v120
	v_add_co_u32 v237, s3, v81, v120
	;; [unrolled: 1-line block ×3, first 2 shown]
	v_add_co_ci_u32_e64 v160, null, v84, v119, s4
	v_add_co_ci_u32_e64 v76, null, v83, v119, vcc_lo
	v_add_co_ci_u32_e64 v72, null, v73, v119, s2
	v_add_co_ci_u32_e64 v164, null, v66, v119, s3
	v_ashrrev_i32_e32 v119, 31, v118
	v_add_co_u32 v232, vcc_lo, v85, v118
	v_add_co_u32 v138, s2, v80, v118
	v_add_co_u32 v1, s3, v81, v118
	v_add_co_u32 v167, s4, v86, v118
	v_add_nc_u32_e32 v118, s66, v136
	v_add_co_ci_u32_e64 v168, null, v84, v119, s4
	v_add_co_ci_u32_e64 v134, null, v83, v119, vcc_lo
	v_add_co_ci_u32_e64 v131, null, v73, v119, s2
	v_add_co_ci_u32_e64 v171, null, v66, v119, s3
	v_add_nc_u32_e32 v119, s66, v118
	buffer_store_dword v1, off, s[96:99], 0 offset:224 ; 4-byte Folded Spill
	v_add_co_u32 v3, s36, v86, v118
	v_add_co_u32 v207, s37, v85, v118
	v_add_nc_u32_e32 v120, s66, v119
	v_ashrrev_i32_e32 v255, 31, v119
	buffer_store_dword v3, off, s[96:99], 0 offset:68 ; 4-byte Folded Spill
	v_add_co_u32 v3, s38, v80, v118
	v_add_nc_u32_e32 v121, s66, v120
	v_ashrrev_i32_e32 v252, 31, v120
	v_add_co_u32 v224, s35, v81, v119
	buffer_store_dword v3, off, s[96:99], 0 offset:8 ; 4-byte Folded Spill
	v_add_nc_u32_e32 v172, s66, v121
	v_ashrrev_i32_e32 v247, 31, v121
	v_add_co_u32 v3, s42, v81, v136
	buffer_store_dword v79, off, s[96:99], 0 offset:1264 ; 4-byte Folded Spill
	v_add_nc_u32_e32 v173, s66, v172
	v_ashrrev_i32_e32 v243, 31, v172
	buffer_store_dword v3, off, s[96:99], 0 offset:4 ; 4-byte Folded Spill
	v_add_co_u32 v3, s43, v86, v136
	v_add_nc_u32_e32 v174, s66, v173
	v_ashrrev_i32_e32 v238, 31, v173
	buffer_store_dword v3, off, s[96:99], 0 offset:104 ; 4-byte Folded Spill
	v_add_co_u32 v3, s45, v86, v197
	v_add_nc_u32_e32 v175, s66, v174
	v_ashrrev_i32_e32 v234, 31, v174
	v_add_co_u32 v227, s12, v85, v174
	buffer_store_dword v3, off, s[96:99], 0 offset:72 ; 4-byte Folded Spill
	v_add_nc_u32_e32 v176, s66, v175
	v_ashrrev_i32_e32 v230, 31, v175
	v_add_co_u32 v229, s14, v81, v174
	v_add_co_ci_u32_e64 v53, null, v83, v234, s12
	v_add_nc_u32_e32 v179, s66, v176
	v_ashrrev_i32_e32 v226, 31, v176
	v_add_nc_u32_e32 v177, s66, v179
	v_ashrrev_i32_e32 v236, 31, v179
	v_add_co_u32 v40, s44, v86, v179
	v_add_co_u32 v42, s49, v85, v179
	v_add_nc_u32_e32 v178, s66, v177
	v_add_co_ci_u32_e64 v39, null, v84, v236, s44
	v_add_co_u32 v3, s44, v85, v197
	v_add_nc_u32_e32 v180, s66, v178
	v_add_co_u32 v51, s41, v81, v179
	buffer_store_dword v3, off, s[96:99], 0 offset:60 ; 4-byte Folded Spill
	v_add_co_u32 v3, s47, v85, v136
	v_add_nc_u32_e32 v181, s66, v180
	v_add_co_ci_u32_e64 v41, null, v83, v236, s49
	buffer_store_dword v3, off, s[96:99], 0 offset:92 ; 4-byte Folded Spill
	v_add_co_u32 v3, s48, v80, v136
	v_add_nc_u32_e32 v182, s66, v181
	v_add_co_u32 v179, s49, v80, v179
	v_add_co_ci_u32_e64 v37, null, v73, v236, s49
	v_ashrrev_i32_e32 v183, 31, v182
	v_add_co_u32 v184, vcc_lo, v85, v182
	v_add_co_u32 v244, s2, v80, v182
	v_add_co_u32 v187, s3, v81, v182
	;; [unrolled: 1-line block ×3, first 2 shown]
	v_ashrrev_i32_e32 v182, 31, v181
	v_add_co_ci_u32_e64 v190, null, v84, v183, s4
	v_add_co_ci_u32_e64 v191, null, v83, v183, vcc_lo
	v_add_co_ci_u32_e64 v192, null, v73, v183, s2
	v_add_co_ci_u32_e64 v183, null, v66, v183, s3
	v_add_co_u32 v193, vcc_lo, v85, v181
	v_add_co_u32 v194, s2, v80, v181
	v_add_co_u32 v231, s3, v81, v181
	;; [unrolled: 1-line block ×3, first 2 shown]
	v_ashrrev_i32_e32 v181, 31, v180
	v_add_co_ci_u32_e64 v198, null, v84, v182, s4
	v_add_co_ci_u32_e64 v199, null, v83, v182, vcc_lo
	v_add_co_ci_u32_e64 v200, null, v73, v182, s2
	v_add_co_ci_u32_e64 v202, null, v66, v182, s3
	v_add_co_u32 v203, vcc_lo, v85, v180
	v_add_co_u32 v204, s2, v80, v180
	v_add_co_u32 v205, s3, v81, v180
	;; [unrolled: 1-line block ×3, first 2 shown]
	v_add_co_ci_u32_e64 v206, null, v84, v181, s4
	v_add_co_ci_u32_e64 v114, null, v83, v181, vcc_lo
	v_add_co_ci_u32_e64 v250, null, v73, v181, s2
	v_add_co_ci_u32_e64 v209, null, v66, v181, s3
	v_ashrrev_i32_e32 v181, 31, v178
	v_add_co_u32 v212, s3, v81, v178
	v_add_co_u32 v210, vcc_lo, v85, v178
	v_add_co_u32 v211, s2, v80, v178
	v_add_co_u32 v213, s4, v86, v178
	v_add_co_ci_u32_e64 v217, null, v66, v181, s3
	v_ashrrev_i32_e32 v178, 31, v177
	v_add_co_u32 v1, s3, v81, v177
	v_add_co_ci_u32_e64 v215, null, v83, v181, vcc_lo
	v_add_co_u32 v219, vcc_lo, v85, v177
	buffer_store_dword v1, off, s[96:99], 0 offset:228 ; 4-byte Folded Spill
	v_add_co_ci_u32_e64 v220, null, v83, v178, vcc_lo
	v_add_co_u32 v1, vcc_lo, v86, v176
	v_add_co_ci_u32_e64 v216, null, v73, v181, s2
	v_add_co_u32 v108, s2, v80, v177
	v_add_co_ci_u32_e64 v158, null, v73, v178, s2
	buffer_store_dword v1, off, s[96:99], 0 offset:220 ; 4-byte Folded Spill
	v_add_co_u32 v1, s2, v85, v176
	v_add_co_ci_u32_e64 v104, null, v66, v178, s3
	v_add_co_ci_u32_e64 v214, null, v84, v181, s4
	buffer_store_dword v1, off, s[96:99], 0 offset:192 ; 4-byte Folded Spill
	v_add_co_u32 v1, s3, v80, v176
	v_add_co_u32 v251, s4, v86, v177
	v_add_co_ci_u32_e64 v222, null, v84, v178, s4
	buffer_store_dword v1, off, s[96:99], 0 offset:204 ; 4-byte Folded Spill
	v_add_co_u32 v1, s4, v81, v176
	v_add_co_u32 v178, s39, v81, v118
	v_add_co_ci_u32_e64 v44, null, v66, v236, s41
	buffer_store_dword v1, off, s[96:99], 0 offset:176 ; 4-byte Folded Spill
	v_add_co_u32 v1, s5, v86, v175
	v_add_co_ci_u32_e64 v43, null, v84, v226, vcc_lo
	v_add_co_ci_u32_e64 v46, null, v83, v226, s2
	buffer_store_dword v1, off, s[96:99], 0 offset:196 ; 4-byte Folded Spill
	v_add_co_u32 v1, s8, v85, v175
	v_add_co_ci_u32_e64 v45, null, v73, v226, s3
	v_add_co_ci_u32_e64 v228, null, v66, v226, s4
	buffer_store_dword v1, off, s[96:99], 0 offset:168 ; 4-byte Folded Spill
	v_add_co_u32 v1, s9, v80, v175
	v_add_co_ci_u32_e64 v47, null, v84, v230, s5
	;; [unrolled: 4-line block ×4, first 2 shown]
	buffer_store_dword v3, off, s[96:99], 0 offset:108 ; 4-byte Folded Spill
	buffer_store_dword v1, off, s[96:99], 0 offset:172 ; 4-byte Folded Spill
	v_add_co_u32 v1, s13, v80, v174
	v_add_co_ci_u32_e64 v52, null, v73, v234, s13
	v_add_co_ci_u32_e64 v50, null, v84, v234, s11
	buffer_store_dword v1, off, s[96:99], 0 offset:164 ; 4-byte Folded Spill
	v_add_co_u32 v1, s15, v86, v173
	v_add_co_ci_u32_e64 v3, null, v84, v238, s15
	s_mul_i32 s8, s64, s69
	buffer_store_dword v1, off, s[96:99], 0 offset:156 ; 4-byte Folded Spill
	v_add_co_u32 v1, s16, v85, v173
	v_add_co_u32 v0, s9, s8, v0
	s_mul_i32 s2, s66, s58
	buffer_store_dword v1, off, s[96:99], 0 offset:144 ; 4-byte Folded Spill
	v_add_co_u32 v1, s17, v80, v173
	s_mul_i32 s3, s82, s58
	s_mul_i32 s4, s74, s82
	;; [unrolled: 1-line block ×3, first 2 shown]
	buffer_store_dword v1, off, s[96:99], 0 offset:152 ; 4-byte Folded Spill
	v_add_co_u32 v1, s18, v81, v173
	buffer_store_dword v1, off, s[96:99], 0 offset:136 ; 4-byte Folded Spill
	v_add_co_u32 v1, s19, v86, v172
	;; [unrolled: 2-line block ×3, first 2 shown]
	v_add_co_ci_u32_e64 v4, null, v83, v243, s20
	buffer_store_dword v1, off, s[96:99], 0 offset:128 ; 4-byte Folded Spill
	v_add_co_u32 v1, s21, v80, v172
	v_add_co_ci_u32_e64 v166, null, v73, v243, s21
	buffer_store_dword v1, off, s[96:99], 0 offset:140 ; 4-byte Folded Spill
	v_add_co_u32 v1, s22, v81, v172
	;; [unrolled: 3-line block ×3, first 2 shown]
	buffer_store_dword v34, off, s[96:99], 0 offset:288 ; 4-byte Folded Spill
	v_add_co_ci_u32_e64 v34, null, v84, v247, s23
	buffer_store_dword v1, off, s[96:99], 0 offset:132 ; 4-byte Folded Spill
	v_add_co_u32 v1, s24, v85, v121
	buffer_store_dword v34, off, s[96:99], 0 offset:292 ; 4-byte Folded Spill
	v_add_co_ci_u32_e64 v34, null, v83, v247, s24
	buffer_store_dword v1, off, s[96:99], 0 offset:112 ; 4-byte Folded Spill
	v_add_co_u32 v1, s25, v80, v121
	;; [unrolled: 4-line block ×10, first 2 shown]
	buffer_store_dword v34, off, s[96:99], 0 offset:248 ; 4-byte Folded Spill
	v_add_co_ci_u32_e64 v34, null, v73, v255, s34
	buffer_store_dword v1, off, s[96:99], 0 offset:80 ; 4-byte Folded Spill
	v_ashrrev_i32_e32 v1, 31, v118
	v_mbcnt_lo_u32_b32 v85, -1, 0
	buffer_store_dword v34, off, s[96:99], 0 offset:252 ; 4-byte Folded Spill
	v_add_co_ci_u32_e64 v34, null, v66, v255, s35
	v_add_co_u32 v81, s46, v80, v197
	v_add_co_ci_u32_e64 v118, null, v73, v238, s17
	buffer_store_dword v34, off, s[96:99], 0 offset:240 ; 4-byte Folded Spill
	v_add_co_ci_u32_e64 v34, null, v84, v1, s36
	v_add_co_ci_u32_e64 v121, null, v66, v238, s18
	v_add_co_ci_u32_e64 v226, null, v83, v1, s37
	buffer_store_dword v34, off, s[96:99], 0 offset:244 ; 4-byte Folded Spill
	v_add_co_ci_u32_e64 v34, null, v73, v1, s38
	v_add_co_ci_u32_e64 v230, null, v66, v1, s39
	;; [unrolled: 4-line block ×3, first 2 shown]
	v_xor_b32_e32 v80, 1, v85
	buffer_store_dword v34, off, s[96:99], 0 offset:212 ; 4-byte Folded Spill
	v_add_co_ci_u32_e64 v34, null, v66, v239, s42
	v_and_b32_e32 v66, 30, v85
	v_add_co_ci_u32_e64 v119, null, v83, v238, s16
	buffer_store_dword v34, off, s[96:99], 0 offset:184 ; 4-byte Folded Spill
	v_add_co_ci_u32_e64 v34, null, v84, v239, s43
	v_add_nc_u32_e32 v66, 2, v66
	v_add_co_ci_u32_e64 v239, null, v83, v239, s47
	buffer_store_dword v34, off, s[96:99], 0 offset:236 ; 4-byte Folded Spill
	v_add_co_ci_u32_e64 v34, null, v84, v235, s45
	v_cmp_lt_i32_e32 vcc_lo, v80, v66
	v_add_co_ci_u32_e64 v120, null, v84, v243, s19
	buffer_store_dword v34, off, s[96:99], 0 offset:208 ; 4-byte Folded Spill
	v_add_co_ci_u32_e64 v34, null, v83, v235, s44
	v_cndmask_b32_e32 v66, v85, v80, vcc_lo
	v_xor_b32_e32 v80, 4, v85
	v_xor_b32_e32 v83, 8, v85
	buffer_store_dword v34, off, s[96:99], 0 offset:188 ; 4-byte Folded Spill
	v_xor_b32_e32 v84, 16, v85
	v_lshlrev_b32_e32 v34, 2, v66
	v_xor_b32_e32 v66, 2, v85
	buffer_store_dword v34, off, s[96:99], 0 offset:1128 ; 4-byte Folded Spill
	v_cmp_gt_i32_e32 vcc_lo, 32, v66
	v_lshlrev_b32_e32 v34, 1, v241
	v_cndmask_b32_e32 v66, v85, v66, vcc_lo
	v_cmp_gt_i32_e32 vcc_lo, 32, v80
	buffer_store_dword v34, off, s[96:99], 0 offset:1124 ; 4-byte Folded Spill
	v_mul_lo_u32 v34, v64, s82
	v_lshlrev_b32_e32 v64, 1, v64
	v_lshlrev_b32_e32 v66, 2, v66
	v_cndmask_b32_e32 v80, v85, v80, vcc_lo
	v_cmp_gt_i32_e32 vcc_lo, 32, v83
	buffer_store_dword v66, off, s[96:99], 0 offset:1108 ; 4-byte Folded Spill
	v_lshlrev_b32_e32 v66, 2, v80
	v_cndmask_b32_e32 v83, v85, v83, vcc_lo
	v_cmp_gt_i32_e32 vcc_lo, 32, v84
	v_add_nc_u32_e32 v80, s82, v34
	buffer_store_dword v66, off, s[96:99], 0 offset:1112 ; 4-byte Folded Spill
	v_lshlrev_b32_e32 v66, 2, v83
	v_cndmask_b32_e32 v84, v85, v84, vcc_lo
	v_ashrrev_i32_e32 v83, 31, v80
	v_add_co_u32 v85, vcc_lo, v0, v80
	buffer_store_dword v66, off, s[96:99], 0 offset:1116 ; 4-byte Folded Spill
	v_lshlrev_b32_e32 v66, 2, v84
	v_add_co_ci_u32_e64 v84, null, s86, 0, s9
	v_add_co_u32 v64, s9, s59, v64
	buffer_store_dword v66, off, s[96:99], 0 offset:1120 ; 4-byte Folded Spill
	v_add_co_ci_u32_e64 v86, null, v84, v83, vcc_lo
	v_add_co_u32 v85, vcc_lo, s91, v85
	buffer_store_dword v85, off, s[96:99], 0 offset:12 ; 4-byte Folded Spill
	v_add_co_ci_u32_e64 v85, null, s92, v86, vcc_lo
	v_add_co_u32 v64, vcc_lo, v64, 2
	buffer_store_dword v85, off, s[96:99], 0 offset:16 ; 4-byte Folded Spill
	v_add_co_ci_u32_e64 v85, null, s54, 0, s9
	buffer_store_dword v64, off, s[96:99], 0 offset:20 ; 4-byte Folded Spill
	s_add_u32 s9, s52, s89
	s_addc_u32 s10, s53, s90
	v_add_co_ci_u32_e64 v64, null, 0, v85, vcc_lo
	v_add_co_u32 v253, vcc_lo, v2, 2
	v_add_co_ci_u32_e64 v252, null, 0, v8, vcc_lo
	buffer_store_dword v64, off, s[96:99], 0 offset:24 ; 4-byte Folded Spill
	v_add_co_u32 v64, vcc_lo, s9, v11
	v_add_co_ci_u32_e64 v85, null, s10, v12, vcc_lo
	v_add_co_u32 v254, vcc_lo, s9, v9
	v_add_co_ci_u32_e64 v249, null, s10, v10, vcc_lo
	v_add_co_u32 v2, vcc_lo, v64, 2
	s_add_u32 s11, s91, s8
	s_addc_u32 s12, s92, s86
	s_add_u32 s8, s8, s87
	buffer_store_dword v2, off, s[96:99], 0 offset:592 ; 4-byte Folded Spill
	v_add_co_ci_u32_e64 v2, null, 0, v85, vcc_lo
	s_clause 0x1
	buffer_load_dword v12, off, s[96:99], 0 offset:272
	buffer_load_dword v9, off, s[96:99], 0 offset:116
	buffer_store_dword v2, off, s[96:99], 0 offset:596 ; 4-byte Folded Spill
	v_add_co_u32 v2, vcc_lo, s9, v17
	buffer_store_dword v2, off, s[96:99], 0 offset:608 ; 4-byte Folded Spill
	v_add_co_ci_u32_e64 v2, null, s10, v18, vcc_lo
	v_add_co_u32 v64, vcc_lo, s11, v80
	v_ashrrev_i32_e32 v80, 31, v34
	buffer_store_dword v2, off, s[96:99], 0 offset:612 ; 4-byte Folded Spill
	s_clause 0x1
	buffer_load_dword v2, off, s[96:99], 0 offset:36
	buffer_load_dword v18, off, s[96:99], 0 offset:256
	buffer_store_dword v64, off, s[96:99], 0 offset:28 ; 4-byte Folded Spill
	v_add_co_ci_u32_e64 v64, null, s12, v83, vcc_lo
	v_add_co_u32 v0, vcc_lo, v0, s87
	buffer_store_dword v64, off, s[96:99], 0 offset:32 ; 4-byte Folded Spill
	v_add_co_ci_u32_e64 v64, null, s88, v84, vcc_lo
	v_add_co_u32 v0, vcc_lo, v0, v34
	v_add_co_ci_u32_e64 v64, null, v64, v80, vcc_lo
	v_add_co_u32 v83, vcc_lo, s9, v13
	;; [unrolled: 2-line block ×12, first 2 shown]
	s_addc_u32 s9, s86, s88
	v_add_co_ci_u32_e64 v64, null, s53, v73, vcc_lo
	v_add_co_u32 v65, vcc_lo, v0, 2
	s_add_u32 s8, s50, s8
	v_add_co_ci_u32_e64 v66, null, 0, v1, vcc_lo
	s_addc_u32 s9, s51, s9
	v_add_co_u32 v0, vcc_lo, s8, v34
	v_add_co_ci_u32_e64 v1, null, s9, v80, vcc_lo
	v_add_co_u32 v34, vcc_lo, s52, v21
	v_add_co_ci_u32_e64 v73, null, s53, v22, vcc_lo
	;; [unrolled: 2-line block ×27, first 2 shown]
	v_add_co_u32 v92, vcc_lo, v0, 2
	s_clause 0x2
	buffer_load_dword v0, off, s[96:99], 0
	buffer_load_dword v22, off, s[96:99], 0 offset:80
	buffer_load_dword v27, off, s[96:99], 0 offset:8
	v_add_co_ci_u32_e64 v93, null, 0, v1, vcc_lo
	s_clause 0x6
	buffer_load_dword v56, off, s[96:99], 0 offset:92
	buffer_load_dword v13, off, s[96:99], 0 offset:100
	;; [unrolled: 1-line block ×7, first 2 shown]
	s_waitcnt vmcnt(9)
	v_add_co_u32 v0, vcc_lo, s52, v0
	v_add_co_ci_u32_e64 v1, null, s53, v97, vcc_lo
	v_add_co_u32 v173, vcc_lo, s52, v242
	v_add_co_ci_u32_e64 v95, null, s53, v245, vcc_lo
	;; [unrolled: 2-line block ×7, first 2 shown]
	v_add_co_u32 v176, vcc_lo, s52, v2
	buffer_load_dword v2, off, s[96:99], 0 offset:40 ; 4-byte Folded Reload
	s_waitcnt vmcnt(0)
	v_add_co_ci_u32_e64 v177, null, s53, v2, vcc_lo
	buffer_load_dword v2, off, s[96:99], 0 offset:44 ; 4-byte Folded Reload
	v_add_co_u32 v102, vcc_lo, v0, 2
	v_add_co_ci_u32_e64 v103, null, 0, v1, vcc_lo
	v_add_co_u32 v0, vcc_lo, s52, v106
	v_add_co_ci_u32_e64 v1, null, s53, v107, vcc_lo
	s_waitcnt vmcnt(0)
	v_add_co_u32 v218, vcc_lo, s52, v2
	buffer_load_dword v2, off, s[96:99], 0 offset:48 ; 4-byte Folded Reload
	s_waitcnt vmcnt(0)
	v_add_co_ci_u32_e64 v2, null, s53, v2, vcc_lo
	v_add_co_u32 v106, vcc_lo, v0, 2
	v_add_co_ci_u32_e64 v110, null, 0, v1, vcc_lo
	buffer_store_dword v2, off, s[96:99], 0 offset:600 ; 4-byte Folded Spill
	buffer_load_dword v2, off, s[96:99], 0 offset:52 ; 4-byte Folded Reload
	v_add_co_u32 v0, vcc_lo, s52, v117
	v_add_co_ci_u32_e64 v1, null, s53, v122, vcc_lo
	s_waitcnt vmcnt(0)
	v_add_co_u32 v117, vcc_lo, s52, v2
	buffer_load_dword v2, off, s[96:99], 0 offset:56 ; 4-byte Folded Reload
	s_waitcnt vmcnt(0)
	v_add_co_ci_u32_e64 v122, null, s53, v2, vcc_lo
	buffer_load_dword v2, off, s[96:99], 0 offset:200 ; 4-byte Folded Reload
	v_add_co_u32 v105, vcc_lo, v0, 2
	v_add_co_ci_u32_e64 v107, null, 0, v1, vcc_lo
	v_add_co_u32 v0, vcc_lo, s52, v123
	v_add_co_ci_u32_e64 v1, null, s53, v124, vcc_lo
	v_mov_b32_e32 v124, v7
	buffer_load_dword v7, off, s[96:99], 0 offset:124 ; 4-byte Folded Reload
	s_waitcnt vmcnt(1)
	v_add_co_u32 v123, vcc_lo, s52, v2
	v_add_co_ci_u32_e64 v109, null, s53, v112, vcc_lo
	v_add_co_u32 v111, vcc_lo, v0, 2
	v_add_co_ci_u32_e64 v112, null, 0, v1, vcc_lo
	;; [unrolled: 2-line block ×5, first 2 shown]
	v_add_co_u32 v0, vcc_lo, s52, v133
	buffer_store_dword v2, off, s[96:99], 0 offset:604 ; 4-byte Folded Spill
	v_add_co_ci_u32_e64 v1, null, s53, v130, vcc_lo
	v_add_co_u32 v2, vcc_lo, s52, v5
	v_mov_b32_e32 v128, v6
	buffer_store_dword v2, off, s[96:99], 0 ; 4-byte Folded Spill
	buffer_load_dword v2, off, s[96:99], 0 offset:216 ; 4-byte Folded Reload
	s_waitcnt vmcnt(0)
	v_add_co_ci_u32_e64 v161, null, s53, v2, vcc_lo
	v_add_co_u32 v197, vcc_lo, v0, 2
	v_add_co_ci_u32_e64 v116, null, 0, v1, vcc_lo
	v_add_co_u32 v0, vcc_lo, s52, v162
	;; [unrolled: 2-line block ×4, first 2 shown]
	buffer_store_dword v2, off, s[96:99], 0 offset:48 ; 4-byte Folded Spill
	buffer_store_dword v0, off, s[96:99], 0 offset:44 ; 4-byte Folded Spill
	v_add_co_ci_u32_e64 v0, null, 0, v1, vcc_lo
	buffer_store_dword v0, off, s[96:99], 0 offset:36 ; 4-byte Folded Spill
	v_add_co_u32 v0, vcc_lo, s52, v140
	v_add_co_ci_u32_e64 v1, null, s53, v141, vcc_lo
	v_add_co_u32 v140, vcc_lo, s52, v186
	v_add_co_ci_u32_e64 v139, null, s53, v139, vcc_lo
	v_add_co_u32 v0, vcc_lo, v0, 2
	buffer_store_dword v0, off, s[96:99], 0 offset:40 ; 4-byte Folded Spill
	v_add_co_ci_u32_e64 v0, null, 0, v1, vcc_lo
	buffer_store_dword v0, off, s[96:99], 0 offset:52 ; 4-byte Folded Spill
	v_add_co_u32 v0, vcc_lo, s52, v144
	v_add_co_ci_u32_e64 v1, null, s53, v145, vcc_lo
	v_add_co_u32 v142, vcc_lo, s52, v142
	v_add_co_ci_u32_e64 v143, null, s53, v143, vcc_lo
	;; [unrolled: 2-line block ×9, first 2 shown]
	buffer_store_dword v2, off, s[96:99], 0 offset:56 ; 4-byte Folded Spill
	buffer_load_dword v2, off, s[96:99], 0 offset:224 ; 4-byte Folded Reload
	v_add_co_u32 v0, vcc_lo, s52, v159
	v_add_co_ci_u32_e64 v1, null, s53, v160, vcc_lo
	v_add_co_u32 v242, vcc_lo, s52, v154
	v_add_co_ci_u32_e64 v155, null, s53, v155, vcc_lo
	;; [unrolled: 2-line block ×13, first 2 shown]
	v_mov_b32_e32 v0, v36
	s_waitcnt vmcnt(0)
	v_add_co_u32 v190, vcc_lo, s52, v2
	buffer_load_dword v2, off, s[96:99], 0 offset:228 ; 4-byte Folded Reload
	v_add_co_ci_u32_e64 v171, null, s53, v171, vcc_lo
	v_add_co_u32 v188, vcc_lo, v34, 2
	v_add_co_ci_u32_e64 v185, null, 0, v1, vcc_lo
	v_add_co_u32 v34, vcc_lo, s52, v244
	;; [unrolled: 2-line block ×17, first 2 shown]
	v_mov_b32_e32 v1, v35
	v_add_co_ci_u32_e64 v35, null, s53, v214, vcc_lo
	v_add_co_u32 v206, vcc_lo, s52, v205
	v_add_co_ci_u32_e64 v205, null, s53, v209, vcc_lo
	v_add_co_u32 v209, vcc_lo, v34, 2
	;; [unrolled: 2-line block ×12, first 2 shown]
	v_add_co_ci_u32_e64 v36, null, s53, v39, vcc_lo
	s_waitcnt vmcnt(0)
	v_add_co_u32 v39, vcc_lo, s52, v2
	buffer_load_dword v2, off, s[96:99], 0 offset:220 ; 4-byte Folded Reload
	v_add_co_ci_u32_e64 v40, null, s53, v104, vcc_lo
	v_add_co_u32 v114, vcc_lo, v34, 2
	v_add_co_ci_u32_e64 v36, null, 0, v36, vcc_lo
	v_add_co_u32 v34, vcc_lo, s52, v179
	;; [unrolled: 2-line block ×4, first 2 shown]
	v_add_co_ci_u32_e64 v133, null, 0, v35, vcc_lo
	s_waitcnt vmcnt(0)
	v_add_co_u32 v34, vcc_lo, s52, v2
	buffer_load_dword v2, off, s[96:99], 0 offset:204 ; 4-byte Folded Reload
	v_add_co_ci_u32_e64 v35, null, s53, v43, vcc_lo
	v_add_co_u32 v43, vcc_lo, s52, v51
	v_add_co_ci_u32_e64 v44, null, s53, v44, vcc_lo
	v_add_co_u32 v51, vcc_lo, v34, 2
	v_add_co_ci_u32_e64 v219, null, 0, v35, vcc_lo
	s_waitcnt vmcnt(0)
	v_add_co_u32 v34, vcc_lo, s52, v2
	buffer_load_dword v2, off, s[96:99], 0 offset:192 ; 4-byte Folded Reload
	v_add_co_ci_u32_e64 v35, null, s53, v45, vcc_lo
	s_waitcnt vmcnt(0)
	v_add_co_u32 v179, vcc_lo, s52, v2
	buffer_load_dword v2, off, s[96:99], 0 offset:196 ; 4-byte Folded Reload
	v_add_co_ci_u32_e64 v45, null, s53, v46, vcc_lo
	v_add_co_u32 v46, vcc_lo, v34, 2
	v_add_co_ci_u32_e64 v147, null, 0, v35, vcc_lo
	s_waitcnt vmcnt(0)
	v_add_co_u32 v34, vcc_lo, s52, v2
	buffer_load_dword v2, off, s[96:99], 0 offset:176 ; 4-byte Folded Reload
	v_add_co_ci_u32_e64 v35, null, s53, v47, vcc_lo
	s_waitcnt vmcnt(0)
	v_add_co_u32 v47, vcc_lo, s52, v2
	buffer_load_dword v2, off, s[96:99], 0 offset:180 ; 4-byte Folded Reload
	;; [unrolled: 10-line block ×4, first 2 shown]
	v_add_co_ci_u32_e64 v130, null, s53, v225, vcc_lo
	v_add_co_u32 v225, vcc_lo, v34, 2
	v_add_co_ci_u32_e64 v137, null, 0, v35, vcc_lo
	s_waitcnt vmcnt(0)
	v_add_co_u32 v34, vcc_lo, s52, v2
	buffer_load_dword v2, off, s[96:99], 0 offset:156 ; 4-byte Folded Reload
	v_add_co_ci_u32_e64 v35, null, s53, v52, vcc_lo
	v_add_co_u32 v52, vcc_lo, s52, v227
	v_add_co_ci_u32_e64 v53, null, s53, v53, vcc_lo
	v_add_co_u32 v227, vcc_lo, v34, 2
	v_add_co_ci_u32_e64 v228, null, 0, v35, vcc_lo
	s_waitcnt vmcnt(0)
	v_add_co_u32 v34, vcc_lo, s52, v2
	buffer_load_dword v2, off, s[96:99], 0 offset:152 ; 4-byte Folded Reload
	v_add_co_ci_u32_e64 v35, null, s53, v3, vcc_lo
	v_add_co_u32 v141, vcc_lo, s52, v229
	v_add_co_ci_u32_e64 v229, null, s53, v236, vcc_lo
	v_add_co_u32 v151, vcc_lo, v34, 2
	v_add_co_ci_u32_e64 v154, null, 0, v35, vcc_lo
	buffer_load_dword v3, off, s[96:99], 0 offset:132 ; 4-byte Folded Reload
	s_waitcnt vmcnt(1)
	v_add_co_u32 v34, vcc_lo, s52, v2
	buffer_load_dword v2, off, s[96:99], 0 offset:144 ; 4-byte Folded Reload
	v_add_co_ci_u32_e64 v35, null, s53, v118, vcc_lo
	s_waitcnt vmcnt(0)
	v_add_co_u32 v167, vcc_lo, s52, v2
	buffer_load_dword v2, off, s[96:99], 0 offset:148 ; 4-byte Folded Reload
	v_add_co_ci_u32_e64 v168, null, s53, v119, vcc_lo
	v_add_co_u32 v193, vcc_lo, v34, 2
	v_add_co_ci_u32_e64 v251, null, 0, v35, vcc_lo
	s_waitcnt vmcnt(0)
	v_add_co_u32 v34, vcc_lo, s52, v2
	buffer_load_dword v2, off, s[96:99], 0 offset:136 ; 4-byte Folded Reload
	v_add_co_ci_u32_e64 v35, null, s53, v120, vcc_lo
	s_waitcnt vmcnt(0)
	v_add_co_u32 v104, vcc_lo, s52, v2
	buffer_load_dword v2, off, s[96:99], 0 offset:140 ; 4-byte Folded Reload
	v_add_co_ci_u32_e64 v108, null, s53, v121, vcc_lo
	v_add_co_u32 v236, vcc_lo, v34, 2
	v_add_co_ci_u32_e64 v158, null, 0, v35, vcc_lo
	s_waitcnt vmcnt(0)
	v_add_co_u32 v34, vcc_lo, s52, v2
	buffer_load_dword v2, off, s[96:99], 0 offset:128 ; 4-byte Folded Reload
	v_add_co_ci_u32_e64 v35, null, s53, v166, vcc_lo
	s_waitcnt vmcnt(0)
	v_add_co_u32 v166, vcc_lo, s52, v2
	v_add_co_ci_u32_e64 v118, null, s53, v4, vcc_lo
	v_add_co_u32 v2, vcc_lo, v34, 2
	v_add_co_ci_u32_e64 v119, null, 0, v35, vcc_lo
	v_add_co_u32 v34, vcc_lo, s52, v3
	buffer_load_dword v3, off, s[96:99], 0 offset:292 ; 4-byte Folded Reload
	s_waitcnt vmcnt(0)
	v_add_co_ci_u32_e64 v35, null, s53, v3, vcc_lo
	buffer_load_dword v3, off, s[96:99], 0 offset:120 ; 4-byte Folded Reload
	s_waitcnt vmcnt(0)
	v_add_co_u32 v4, vcc_lo, s52, v3
	buffer_load_dword v3, off, s[96:99], 0 offset:288 ; 4-byte Folded Reload
	s_waitcnt vmcnt(0)
	v_add_co_ci_u32_e64 v5, null, s53, v3, vcc_lo
	v_add_co_u32 v6, vcc_lo, v34, 2
	v_add_co_ci_u32_e64 v3, null, 0, v35, vcc_lo
	v_add_co_u32 v34, vcc_lo, s52, v7
	buffer_load_dword v7, off, s[96:99], 0 offset:284 ; 4-byte Folded Reload
	s_waitcnt vmcnt(0)
	v_add_co_ci_u32_e64 v35, null, s53, v7, vcc_lo
	buffer_load_dword v7, off, s[96:99], 0 offset:112 ; 4-byte Folded Reload
	s_waitcnt vmcnt(0)
	v_add_co_u32 v8, vcc_lo, s52, v7
	buffer_load_dword v7, off, s[96:99], 0 offset:280 ; 4-byte Folded Reload
	s_waitcnt vmcnt(0)
	v_add_co_ci_u32_e64 v10, null, s53, v7, vcc_lo
	v_add_co_u32 v11, vcc_lo, v34, 2
	v_add_co_ci_u32_e64 v7, null, 0, v35, vcc_lo
	v_add_co_u32 v34, vcc_lo, s52, v9
	buffer_load_dword v9, off, s[96:99], 0 offset:276 ; 4-byte Folded Reload
	s_waitcnt vmcnt(0)
	v_add_co_ci_u32_e64 v35, null, s53, v9, vcc_lo
	buffer_load_dword v9, off, s[96:99], 0 offset:96 ; 4-byte Folded Reload
	s_waitcnt vmcnt(0)
	v_add_co_u32 v9, vcc_lo, s52, v9
	v_add_co_ci_u32_e64 v14, null, s53, v12, vcc_lo
	v_add_co_u32 v15, vcc_lo, v34, 2
	v_add_co_ci_u32_e64 v12, null, 0, v35, vcc_lo
	v_add_co_u32 v34, vcc_lo, s52, v13
	buffer_load_dword v13, off, s[96:99], 0 offset:268 ; 4-byte Folded Reload
	s_waitcnt vmcnt(0)
	v_add_co_ci_u32_e64 v35, null, s53, v13, vcc_lo
	buffer_load_dword v13, off, s[96:99], 0 offset:84 ; 4-byte Folded Reload
	s_waitcnt vmcnt(0)
	v_add_co_u32 v13, vcc_lo, s52, v13
	v_add_co_ci_u32_e64 v21, null, s53, v16, vcc_lo
	buffer_load_dword v16, off, s[96:99], 0 offset:88 ; 4-byte Folded Reload
	v_add_co_u32 v20, vcc_lo, v34, 2
	v_add_co_ci_u32_e64 v17, null, 0, v35, vcc_lo
	s_waitcnt vmcnt(0)
	v_add_co_u32 v34, vcc_lo, s52, v16
	buffer_load_dword v16, off, s[96:99], 0 offset:260 ; 4-byte Folded Reload
	s_waitcnt vmcnt(0)
	v_add_co_ci_u32_e64 v35, null, s53, v16, vcc_lo
	buffer_load_dword v16, off, s[96:99], 0 offset:76 ; 4-byte Folded Reload
	s_waitcnt vmcnt(0)
	v_add_co_u32 v16, vcc_lo, s52, v16
	v_add_co_ci_u32_e64 v18, null, s53, v18, vcc_lo
	v_add_co_u32 v23, vcc_lo, v34, 2
	v_add_co_ci_u32_e64 v19, null, 0, v35, vcc_lo
	v_add_co_u32 v34, vcc_lo, s52, v22
	buffer_load_dword v22, off, s[96:99], 0 offset:252 ; 4-byte Folded Reload
	s_waitcnt vmcnt(0)
	v_add_co_ci_u32_e64 v35, null, s53, v22, vcc_lo
	buffer_load_dword v22, off, s[96:99], 0 offset:64 ; 4-byte Folded Reload
	s_waitcnt vmcnt(0)
	v_add_co_u32 v22, vcc_lo, s52, v22
	v_add_co_ci_u32_e64 v29, null, s53, v24, vcc_lo
	buffer_load_dword v24, off, s[96:99], 0 offset:68 ; 4-byte Folded Reload
	v_add_co_u32 v28, vcc_lo, v34, 2
	v_add_co_ci_u32_e64 v30, null, 0, v35, vcc_lo
	s_waitcnt vmcnt(0)
	v_add_co_u32 v34, vcc_lo, s52, v24
	buffer_load_dword v24, off, s[96:99], 0 offset:244 ; 4-byte Folded Reload
	s_waitcnt vmcnt(0)
	v_add_co_ci_u32_e64 v35, null, s53, v24, vcc_lo
	v_add_co_u32 v24, vcc_lo, s52, v224
	v_add_co_ci_u32_e64 v25, null, s53, v25, vcc_lo
	v_add_co_u32 v26, vcc_lo, v34, 2
	;; [unrolled: 2-line block ×3, first 2 shown]
	buffer_load_dword v27, off, s[96:99], 0 offset:232 ; 4-byte Folded Reload
	s_waitcnt vmcnt(0)
	v_add_co_ci_u32_e64 v35, null, s53, v27, vcc_lo
	v_add_co_u32 v27, vcc_lo, s52, v207
	v_add_co_ci_u32_e64 v120, null, s53, v226, vcc_lo
	v_add_co_u32 v121, vcc_lo, v34, 2
	;; [unrolled: 2-line block ×3, first 2 shown]
	buffer_load_dword v31, off, s[96:99], 0 offset:236 ; 4-byte Folded Reload
	s_waitcnt vmcnt(0)
	v_add_co_ci_u32_e64 v35, null, s53, v31, vcc_lo
	v_add_co_u32 v31, vcc_lo, s52, v178
	v_add_co_ci_u32_e64 v33, null, s53, v230, vcc_lo
	v_add_co_u32 v224, vcc_lo, v34, 2
	buffer_load_dword v34, off, s[96:99], 0 offset:108 ; 4-byte Folded Reload
	v_add_co_ci_u32_e64 v230, null, 0, v35, vcc_lo
	buffer_load_dword v35, off, s[96:99], 0 offset:212 ; 4-byte Folded Reload
	s_waitcnt vmcnt(1)
	v_add_co_u32 v34, vcc_lo, s52, v34
	s_waitcnt vmcnt(0)
	v_add_co_ci_u32_e64 v35, null, s53, v35, vcc_lo
	v_add_co_u32 v241, vcc_lo, s52, v56
	v_add_co_ci_u32_e64 v135, null, s53, v239, vcc_lo
	v_add_co_u32 v239, vcc_lo, v34, 2
	buffer_load_dword v34, off, s[96:99], 0 offset:72 ; 4-byte Folded Reload
	v_add_co_ci_u32_e64 v129, null, 0, v35, vcc_lo
	s_clause 0x1
	buffer_load_dword v35, off, s[96:99], 0 offset:208
	buffer_load_dword v56, off, s[96:99], 0 offset:4
	s_waitcnt vmcnt(2)
	v_add_co_u32 v34, vcc_lo, s52, v34
	s_waitcnt vmcnt(1)
	v_add_co_ci_u32_e64 v35, null, s53, v35, vcc_lo
	s_waitcnt vmcnt(0)
	v_add_co_u32 v56, vcc_lo, s52, v56
	v_add_co_ci_u32_e64 v189, null, s53, v78, vcc_lo
	v_add_co_u32 v178, vcc_lo, v34, 2
	buffer_load_dword v34, off, s[96:99], 0 offset:60 ; 4-byte Folded Reload
	v_add_co_ci_u32_e64 v94, null, 0, v35, vcc_lo
	s_waitcnt vmcnt(0)
	v_add_co_u32 v207, vcc_lo, s52, v34
	buffer_load_dword v34, off, s[96:99], 0 offset:188 ; 4-byte Folded Reload
	s_waitcnt vmcnt(0)
	v_add_co_ci_u32_e64 v98, null, s53, v34, vcc_lo
	v_and_b32_e32 v34, 4, v79
	buffer_store_dword v34, off, s[96:99], 0 offset:1260 ; 4-byte Folded Spill
	v_mov_b32_e32 v34, s80
	v_mov_b32_e32 v35, s81
	buffer_store_dword v34, off, s[96:99], 0 offset:584 ; 4-byte Folded Spill
	buffer_store_dword v35, off, s[96:99], 0 offset:588 ; 4-byte Folded Spill
	v_mov_b32_e32 v34, s78
	v_mov_b32_e32 v35, s79
	buffer_store_dword v34, off, s[96:99], 0 offset:616 ; 4-byte Folded Spill
	buffer_store_dword v35, off, s[96:99], 0 offset:620 ; 4-byte Folded Spill
	s_branch .LBB28_22
.LBB28_21:                              ;   in Loop: Header=BB28_22 Depth=1
	v_mov_b32_e32 v66, v69
	v_mov_b32_e32 v69, v80
	;; [unrolled: 1-line block ×36, first 2 shown]
	s_clause 0x3e
	buffer_load_dword v190, off, s[96:99], 0 offset:924
	buffer_load_dword v183, off, s[96:99], 0 offset:920
	;; [unrolled: 1-line block ×63, first 2 shown]
	s_clause 0x3e
	buffer_load_dword v137, off, s[96:99], 0 offset:748
	buffer_load_dword v9, off, s[96:99], 0 offset:152
	;; [unrolled: 1-line block ×63, first 2 shown]
	s_clause 0x9
	buffer_load_dword v178, off, s[96:99], 0 offset:828
	buffer_load_dword v94, off, s[96:99], 0 offset:832
	;; [unrolled: 1-line block ×10, first 2 shown]
	v_add_f32_e32 v38, 0x40051340, v36
	v_add_f32_e32 v39, 0x40051340, v42
	v_mov_b32_e32 v208, 0x10001
	v_add_f32_e32 v48, 0x40051340, v43
	v_mov_b32_e32 v252, v54
	v_mov_b32_e32 v58, v62
	;; [unrolled: 1-line block ×24, first 2 shown]
	s_add_i32 s58, s58, s74
	s_cmp_ge_i32 s58, s73
	s_waitcnt vmcnt(62)
	v_mov_b32_e32 v55, v195
	v_mov_b32_e32 v199, v77
	;; [unrolled: 1-line block ×3, first 2 shown]
	s_waitcnt vmcnt(5)
	v_max3_f32 v38, v51, v38, v39
	s_waitcnt vmcnt(3)
	ds_bpermute_b32 v39, v0, v38
	s_waitcnt lgkmcnt(0)
	v_max_f32_e32 v39, v39, v39
	v_max_f32_e32 v38, v38, v39
	s_waitcnt vmcnt(2)
	ds_bpermute_b32 v39, v1, v38
	s_waitcnt lgkmcnt(0)
	v_max_f32_e32 v39, v39, v39
	v_max_f32_e32 v38, v38, v39
	;; [unrolled: 5-line block ×4, first 2 shown]
	v_sub_f32_e32 v34, v51, v35
	v_mul_f32_e32 v38, 0x3fb8aa3b, v34
	v_cmp_ngt_f32_e32 vcc_lo, 0xc2ce8ed0, v34
	v_fma_f32 v39, 0x3fb8aa3b, v34, -v38
	v_rndne_f32_e32 v40, v38
	v_fmac_f32_e32 v39, 0x32a5705f, v34
	v_sub_f32_e32 v38, v38, v40
	v_add_f32_e32 v38, v38, v39
	v_cvt_i32_f32_e32 v39, v40
	v_exp_f32_e32 v38, v38
	v_ldexp_f32 v38, v38, v39
	v_cndmask_b32_e32 v38, 0, v38, vcc_lo
	v_cmp_nlt_f32_e32 vcc_lo, 0x42b17218, v34
	v_cndmask_b32_e32 v11, 0x7f800000, v38, vcc_lo
	buffer_store_dword v11, off, s[96:99], 0 offset:592 ; 4-byte Folded Spill
	ds_read_b128 v[38:41], v127
	ds_read_b128 v[44:47], v127 offset:16
	v_cvt_f16_f32_e32 v34, v11
	v_mov_b32_e32 v11, v115
	v_mul_u32_u24_sdwa v34, v34, v208 dst_sel:DWORD dst_unused:UNUSED_PAD src0_sel:WORD_0 src1_sel:DWORD
	s_waitcnt lgkmcnt(1)
	v_pk_mul_f16 v38, v38, v34
	v_pk_mul_f16 v39, v39, v34
	;; [unrolled: 1-line block ×4, first 2 shown]
	v_add_f32_e32 v34, 0x40051340, v37
	v_max3_f32 v34, v52, v34, v48
	ds_bpermute_b32 v48, v0, v34
	v_mov_b32_e32 v0, v35
	s_waitcnt lgkmcnt(0)
	v_max_f32_e32 v48, v48, v48
	v_max_f32_e32 v34, v34, v48
	ds_bpermute_b32 v48, v1, v34
	s_waitcnt lgkmcnt(0)
	v_max_f32_e32 v48, v48, v48
	v_max_f32_e32 v34, v34, v48
	ds_bpermute_b32 v48, v49, v34
	;; [unrolled: 4-line block ×3, first 2 shown]
	s_waitcnt lgkmcnt(0)
	v_max_f32_e32 v48, v48, v48
	v_max_f32_e32 v1, v34, v48
	v_sub_f32_e32 v34, v52, v1
	v_mov_b32_e32 v86, v1
	v_mov_b32_e32 v85, v0
	v_mul_f32_e32 v35, 0x3fb8aa3b, v34
	v_cmp_ngt_f32_e32 vcc_lo, 0xc2ce8ed0, v34
	v_fma_f32 v48, 0x3fb8aa3b, v34, -v35
	v_rndne_f32_e32 v49, v35
	v_fmac_f32_e32 v48, 0x32a5705f, v34
	v_sub_f32_e32 v35, v35, v49
	v_add_f32_e32 v35, v35, v48
	v_cvt_i32_f32_e32 v48, v49
	v_exp_f32_e32 v35, v35
	v_ldexp_f32 v35, v35, v48
	v_cndmask_b32_e32 v35, 0, v35, vcc_lo
	v_cmp_nlt_f32_e32 vcc_lo, 0x42b17218, v34
	v_cndmask_b32_e32 v0, 0x7f800000, v35, vcc_lo
	v_cvt_f16_f32_e32 v34, v0
	buffer_store_dword v0, off, s[96:99], 0 offset:596 ; 4-byte Folded Spill
	v_mul_u32_u24_sdwa v34, v34, v208 dst_sel:DWORD dst_unused:UNUSED_PAD src0_sel:WORD_0 src1_sel:DWORD
	v_pk_mul_f16 v52, v44, v34
	v_pk_mul_f16 v53, v45, v34
	;; [unrolled: 1-line block ×4, first 2 shown]
	v_add_co_u32 v34, vcc_lo, v135, s2
	v_add_co_ci_u32_e64 v35, null, 0, v252, vcc_lo
	global_load_dword v44, v[34:35], off
	v_add_co_u32 v34, vcc_lo, v10, s2
	v_add_co_ci_u32_e64 v35, null, 0, v126, vcc_lo
	global_load_ushort v34, v[34:35], off
	buffer_store_dword v85, off, s[96:99], 0 offset:1060 ; 4-byte Folded Spill
	buffer_store_dword v86, off, s[96:99], 0 offset:1064 ; 4-byte Folded Spill
	v_cndmask_b32_e64 v35, v42, v36, s1
	v_cndmask_b32_e64 v36, v43, v37, s1
	ds_write_b128 v127, v[38:41]
	buffer_load_dword v1, off, s[96:99], 0 offset:1260 ; 4-byte Folded Reload
	v_sub_f32_e32 v35, v35, v85
	v_sub_f32_e32 v36, v36, v86
	s_waitcnt vmcnt(1)
	v_mul_u32_u24_e32 v34, 0x10001, v34
	v_mov_b32_e32 v86, v170
	v_mov_b32_e32 v85, v131
	v_mul_f32_e32 v37, 0x3fb8aa3b, v35
	v_cmp_ngt_f32_e32 vcc_lo, 0xc2ce8ed0, v35
	v_fma_f32 v42, 0x3fb8aa3b, v35, -v37
	v_rndne_f32_e32 v43, v37
	v_fmac_f32_e32 v42, 0x32a5705f, v35
	v_sub_f32_e32 v37, v37, v43
	v_cvt_i32_f32_e32 v43, v43
	v_add_f32_e32 v37, v37, v42
	v_mul_f32_e32 v42, 0x3fb8aa3b, v36
	v_exp_f32_e32 v37, v37
	v_fma_f32 v45, 0x3fb8aa3b, v36, -v42
	v_rndne_f32_e32 v46, v42
	v_fmac_f32_e32 v45, 0x32a5705f, v36
	v_sub_f32_e32 v42, v42, v46
	v_ldexp_f32 v37, v37, v43
	v_cvt_i32_f32_e32 v43, v46
	v_add_f32_e32 v42, v42, v45
	v_cndmask_b32_e32 v37, 0, v37, vcc_lo
	v_cmp_nlt_f32_e32 vcc_lo, 0x42b17218, v35
	v_exp_f32_e32 v42, v42
	v_cndmask_b32_e32 v0, 0x7f800000, v37, vcc_lo
	buffer_load_dword v37, off, s[96:99], 0 offset:1104 ; 4-byte Folded Reload
	v_cmp_ngt_f32_e32 vcc_lo, 0xc2ce8ed0, v36
	v_cvt_f16_f32_e32 v35, v0
	v_ldexp_f32 v42, v42, v43
	buffer_store_dword v0, off, s[96:99], 0 offset:600 ; 4-byte Folded Spill
	s_waitcnt vmcnt(0)
	ds_write_b16 v37, v35
	v_cndmask_b32_e32 v35, 0, v42, vcc_lo
	v_cmp_nlt_f32_e32 vcc_lo, 0x42b17218, v36
	v_cndmask_b32_e32 v0, 0x7f800000, v35, vcc_lo
	buffer_store_dword v0, off, s[96:99], 0 offset:604 ; 4-byte Folded Spill
	v_cvt_f16_f32_e32 v35, v0
	buffer_load_dword v0, off, s[96:99], 0 offset:1124 ; 4-byte Folded Reload
	ds_write_b16 v37, v35 offset:256
	v_ashrrev_i32_e32 v35, v1, v44
	v_and_b32_e32 v35, 0xf0f0f0f, v35
	v_lshlrev_b16 v36, 8, v35
	v_and_b32_e32 v37, 0xf00, v35
	v_lshrrev_b32_e32 v35, 16, v35
	v_add_nc_u16 v36, 0xf800, v36
	v_or_b32_sdwa v36, v37, v36 dst_sel:DWORD dst_unused:UNUSED_PAD src0_sel:DWORD src1_sel:BYTE_1
	v_lshlrev_b16 v37, 8, v35
	v_and_b32_e32 v35, 0xf00, v35
	v_add_nc_u16 v36, 0xf800, v36
	v_add_nc_u16 v37, 0xf800, v37
	v_or_b32_sdwa v35, v35, v37 dst_sel:DWORD dst_unused:UNUSED_PAD src0_sel:DWORD src1_sel:BYTE_1
	v_lshrrev_b32_e32 v37, 8, v36
	v_cvt_f16_i16_sdwa v36, sext(v36) dst_sel:DWORD dst_unused:UNUSED_PAD src0_sel:BYTE_0
	v_add_nc_u16 v35, 0xf800, v35
	v_cvt_f16_i16_sdwa v37, sext(v37) dst_sel:DWORD dst_unused:UNUSED_PAD src0_sel:BYTE_0
	v_pack_b32_f16 v36, v36, v37
	v_lshrrev_b32_e32 v37, 8, v35
	v_cvt_f16_i16_sdwa v35, sext(v35) dst_sel:DWORD dst_unused:UNUSED_PAD src0_sel:BYTE_0
	v_pk_mul_f16 v209, v36, v34
	v_cvt_f16_i16_sdwa v37, sext(v37) dst_sel:DWORD dst_unused:UNUSED_PAD src0_sel:BYTE_0
	v_pack_b32_f16 v35, v35, v37
	v_pk_mul_f16 v210, v35, v34
	s_waitcnt vmcnt(0)
	ds_read_b128 v[34:37], v0
	ds_read_b128 v[42:45], v0 offset:16
	s_waitcnt lgkmcnt(1)
	v_mul_u32_u24_sdwa v122, v34, v208 dst_sel:DWORD dst_unused:UNUSED_PAD src0_sel:WORD_0 src1_sel:DWORD
	v_mul_u32_u24_sdwa v34, v34, v208 dst_sel:DWORD dst_unused:UNUSED_PAD src0_sel:WORD_1 src1_sel:DWORD
	v_pk_fma_f16 v123, v209, v122, v38
	v_pk_fma_f16 v124, v210, v122, v39
	ds_read_b128 v[46:49], v0 offset:256
	ds_read_b128 v[38:41], v0 offset:272
	buffer_store_dword v110, off, s[96:99], 0 offset:616 ; 4-byte Folded Spill
	s_waitcnt lgkmcnt(1)
	v_mul_u32_u24_sdwa v128, v46, v208 dst_sel:DWORD dst_unused:UNUSED_PAD src0_sel:WORD_0 src1_sel:DWORD
	v_mul_u32_u24_sdwa v46, v46, v208 dst_sel:DWORD dst_unused:UNUSED_PAD src0_sel:WORD_1 src1_sel:DWORD
	v_pk_fma_f16 v209, v209, v128, v52
	v_add_co_u32 v52, vcc_lo, v57, s2
	v_pk_fma_f16 v210, v210, v128, v53
	v_add_co_ci_u32_e64 v53, null, 0, v110, vcc_lo
	global_load_dword v211, v[52:53], off
	v_add_co_u32 v52, vcc_lo, v174, s2
	v_add_co_ci_u32_e64 v53, null, 0, v11, vcc_lo
	global_load_ushort v52, v[52:53], off
	s_waitcnt vmcnt(1)
	v_ashrrev_i32_e32 v53, v1, v211
	v_and_b32_e32 v53, 0xf0f0f0f, v53
	s_waitcnt vmcnt(0)
	v_mul_u32_u24_e32 v52, 0x10001, v52
	v_lshlrev_b16 v211, 8, v53
	v_and_b32_e32 v212, 0xf00, v53
	v_lshrrev_b32_e32 v53, 16, v53
	v_add_nc_u16 v211, 0xf800, v211
	v_or_b32_sdwa v211, v212, v211 dst_sel:DWORD dst_unused:UNUSED_PAD src0_sel:DWORD src1_sel:BYTE_1
	v_lshlrev_b16 v212, 8, v53
	v_and_b32_e32 v53, 0xf00, v53
	v_add_nc_u16 v211, 0xf800, v211
	v_add_nc_u16 v212, 0xf800, v212
	v_or_b32_sdwa v53, v53, v212 dst_sel:DWORD dst_unused:UNUSED_PAD src0_sel:DWORD src1_sel:BYTE_1
	v_lshrrev_b32_e32 v212, 8, v211
	v_cvt_f16_i16_sdwa v211, sext(v211) dst_sel:DWORD dst_unused:UNUSED_PAD src0_sel:BYTE_0
	v_add_nc_u16 v53, 0xf800, v53
	v_cvt_f16_i16_sdwa v212, sext(v212) dst_sel:DWORD dst_unused:UNUSED_PAD src0_sel:BYTE_0
	v_pack_b32_f16 v211, v211, v212
	v_lshrrev_b32_e32 v212, 8, v53
	v_cvt_f16_i16_sdwa v53, sext(v53) dst_sel:DWORD dst_unused:UNUSED_PAD src0_sel:BYTE_0
	v_pk_mul_f16 v213, v211, v52
	v_cvt_f16_i16_sdwa v212, sext(v212) dst_sel:DWORD dst_unused:UNUSED_PAD src0_sel:BYTE_0
	v_pk_fma_f16 v211, v213, v128, v50
	v_pack_b32_f16 v53, v53, v212
	v_add_co_u32 v50, vcc_lo, v58, s2
	v_pk_mul_f16 v214, v53, v52
	v_pk_fma_f16 v212, v214, v128, v51
	v_add_co_ci_u32_e64 v51, null, 0, v83, vcc_lo
	ds_write_b128 v127, v[209:212] offset:16
	global_load_dword v52, v[50:51], off
	v_add_co_u32 v50, vcc_lo, v102, s2
	v_add_co_ci_u32_e64 v51, null, 0, v59, vcc_lo
	v_mov_b32_e32 v59, v83
	global_load_dword v53, v[50:51], off
	v_add_co_u32 v50, vcc_lo, v201, s2
	v_add_co_ci_u32_e64 v51, null, 0, v134, vcc_lo
	global_load_ushort v128, v[50:51], off
	v_add_co_u32 v50, vcc_lo, v64, s2
	v_add_co_ci_u32_e64 v51, null, 0, v60, vcc_lo
	v_mov_b32_e32 v60, v134
	v_mov_b32_e32 v134, v157
	global_load_ushort v50, v[50:51], off
	s_waitcnt vmcnt(3)
	v_ashrrev_i32_e32 v51, v1, v52
	v_and_b32_e32 v51, 0xf0f0f0f, v51
	s_waitcnt vmcnt(2)
	v_ashrrev_i32_e32 v53, v1, v53
	v_lshlrev_b16 v52, 8, v51
	v_and_b32_e32 v215, 0xf00, v51
	v_lshrrev_b32_e32 v51, 16, v51
	v_and_b32_e32 v53, 0xf0f0f0f, v53
	v_add_nc_u16 v52, 0xf800, v52
	s_waitcnt vmcnt(1)
	v_mul_u32_u24_e32 v128, 0x10001, v128
	v_and_b32_e32 v216, 0xf00, v53
	v_or_b32_sdwa v52, v215, v52 dst_sel:DWORD dst_unused:UNUSED_PAD src0_sel:DWORD src1_sel:BYTE_1
	v_lshlrev_b16 v215, 8, v53
	v_lshrrev_b32_e32 v53, 16, v53
	s_waitcnt vmcnt(0)
	v_mul_u32_u24_e32 v50, 0x10001, v50
	v_add_nc_u16 v52, 0xf800, v52
	v_add_nc_u16 v215, 0xf800, v215
	v_or_b32_sdwa v215, v216, v215 dst_sel:DWORD dst_unused:UNUSED_PAD src0_sel:DWORD src1_sel:BYTE_1
	v_lshlrev_b16 v216, 8, v51
	v_and_b32_e32 v51, 0xf00, v51
	v_add_nc_u16 v215, 0xf800, v215
	v_add_nc_u16 v216, 0xf800, v216
	v_or_b32_sdwa v51, v51, v216 dst_sel:DWORD dst_unused:UNUSED_PAD src0_sel:DWORD src1_sel:BYTE_1
	v_lshlrev_b16 v216, 8, v53
	v_and_b32_e32 v53, 0xf00, v53
	v_add_nc_u16 v51, 0xf800, v51
	v_add_nc_u16 v216, 0xf800, v216
	v_or_b32_sdwa v53, v53, v216 dst_sel:DWORD dst_unused:UNUSED_PAD src0_sel:DWORD src1_sel:BYTE_1
	v_lshrrev_b32_e32 v216, 8, v52
	v_cvt_f16_i16_sdwa v52, sext(v52) dst_sel:DWORD dst_unused:UNUSED_PAD src0_sel:BYTE_0
	v_add_nc_u16 v53, 0xf800, v53
	v_cvt_f16_i16_sdwa v216, sext(v216) dst_sel:DWORD dst_unused:UNUSED_PAD src0_sel:BYTE_0
	v_pack_b32_f16 v52, v52, v216
	v_lshrrev_b32_e32 v216, 8, v215
	v_cvt_f16_i16_sdwa v215, sext(v215) dst_sel:DWORD dst_unused:UNUSED_PAD src0_sel:BYTE_0
	v_cvt_f16_i16_sdwa v216, sext(v216) dst_sel:DWORD dst_unused:UNUSED_PAD src0_sel:BYTE_0
	v_pack_b32_f16 v215, v215, v216
	v_lshrrev_b32_e32 v216, 8, v51
	v_cvt_f16_i16_sdwa v51, sext(v51) dst_sel:DWORD dst_unused:UNUSED_PAD src0_sel:BYTE_0
	v_pk_mul_f16 v215, v215, v50
	v_cvt_f16_i16_sdwa v216, sext(v216) dst_sel:DWORD dst_unused:UNUSED_PAD src0_sel:BYTE_0
	v_pack_b32_f16 v51, v51, v216
	v_lshrrev_b32_e32 v216, 8, v53
	v_cvt_f16_i16_sdwa v53, sext(v53) dst_sel:DWORD dst_unused:UNUSED_PAD src0_sel:BYTE_0
	v_cvt_f16_i16_sdwa v216, sext(v216) dst_sel:DWORD dst_unused:UNUSED_PAD src0_sel:BYTE_0
	v_pack_b32_f16 v53, v53, v216
	v_pk_mul_f16 v216, v52, v128
	v_pk_mul_f16 v128, v51, v128
	v_pk_fma_f16 v52, v215, v46, v211
	v_pk_mul_f16 v217, v53, v50
	v_pk_fma_f16 v50, v216, v46, v209
	v_pk_fma_f16 v51, v128, v46, v210
	ds_read_b64 v[209:210], v127 offset:8
	v_pk_fma_f16 v53, v217, v46, v212
	ds_write_b128 v127, v[50:53] offset:16
	s_waitcnt lgkmcnt(1)
	v_pk_fma_f16 v46, v213, v122, v209
	v_add_co_u32 v213, vcc_lo, v65, s2
	v_pk_fma_f16 v122, v214, v122, v210
	v_add_co_ci_u32_e64 v214, null, 0, v71, vcc_lo
	v_pk_fma_f16 v209, v216, v34, v123
	v_pk_fma_f16 v211, v215, v34, v46
	;; [unrolled: 1-line block ×4, first 2 shown]
	global_load_dword v34, v[213:214], off
	v_add_co_u32 v213, vcc_lo, v178, s2
	v_add_co_ci_u32_e64 v214, null, 0, v94, vcc_lo
	ds_write_b128 v127, v[209:212]
	v_mov_b32_e32 v217, v146
	v_mov_b32_e32 v146, v145
	global_load_dword v46, v[213:214], off
	v_add_co_u32 v213, vcc_lo, v68, s2
	v_add_co_ci_u32_e64 v214, null, 0, v66, vcc_lo
	global_load_ushort v122, v[213:214], off
	v_add_co_u32 v213, vcc_lo, v207, s2
	v_add_co_ci_u32_e64 v214, null, 0, v98, vcc_lo
	global_load_ushort v123, v[213:214], off
	s_waitcnt vmcnt(3)
	v_ashrrev_i32_e32 v34, v1, v34
	v_and_b32_e32 v34, 0xf0f0f0f, v34
	s_waitcnt vmcnt(2)
	v_ashrrev_i32_e32 v46, v1, v46
	v_lshlrev_b16 v124, 8, v34
	v_and_b32_e32 v128, 0xf00, v34
	v_lshrrev_b32_e32 v34, 16, v34
	v_and_b32_e32 v46, 0xf0f0f0f, v46
	v_add_nc_u16 v124, 0xf800, v124
	s_waitcnt vmcnt(1)
	v_mul_u32_u24_e32 v122, 0x10001, v122
	v_and_b32_e32 v213, 0xf00, v46
	v_or_b32_sdwa v124, v128, v124 dst_sel:DWORD dst_unused:UNUSED_PAD src0_sel:DWORD src1_sel:BYTE_1
	v_lshlrev_b16 v128, 8, v46
	v_lshrrev_b32_e32 v46, 16, v46
	v_add_nc_u16 v124, 0xf800, v124
	v_add_nc_u16 v128, 0xf800, v128
	v_or_b32_sdwa v128, v213, v128 dst_sel:DWORD dst_unused:UNUSED_PAD src0_sel:DWORD src1_sel:BYTE_1
	v_lshlrev_b16 v213, 8, v34
	v_and_b32_e32 v34, 0xf00, v34
	v_add_nc_u16 v128, 0xf800, v128
	v_add_nc_u16 v213, 0xf800, v213
	v_or_b32_sdwa v34, v34, v213 dst_sel:DWORD dst_unused:UNUSED_PAD src0_sel:DWORD src1_sel:BYTE_1
	v_lshlrev_b16 v213, 8, v46
	v_and_b32_e32 v46, 0xf00, v46
	v_add_nc_u16 v34, 0xf800, v34
	v_add_nc_u16 v213, 0xf800, v213
	v_or_b32_sdwa v46, v46, v213 dst_sel:DWORD dst_unused:UNUSED_PAD src0_sel:DWORD src1_sel:BYTE_1
	v_lshrrev_b32_e32 v213, 8, v124
	v_cvt_f16_i16_sdwa v124, sext(v124) dst_sel:DWORD dst_unused:UNUSED_PAD src0_sel:BYTE_0
	v_add_nc_u16 v46, 0xf800, v46
	v_cvt_f16_i16_sdwa v213, sext(v213) dst_sel:DWORD dst_unused:UNUSED_PAD src0_sel:BYTE_0
	v_pack_b32_f16 v124, v124, v213
	v_lshrrev_b32_e32 v213, 8, v128
	v_cvt_f16_i16_sdwa v128, sext(v128) dst_sel:DWORD dst_unused:UNUSED_PAD src0_sel:BYTE_0
	v_pk_mul_f16 v124, v124, v122
	v_cvt_f16_i16_sdwa v213, sext(v213) dst_sel:DWORD dst_unused:UNUSED_PAD src0_sel:BYTE_0
	v_pack_b32_f16 v128, v128, v213
	v_lshrrev_b32_e32 v213, 8, v34
	v_cvt_f16_i16_sdwa v34, sext(v34) dst_sel:DWORD dst_unused:UNUSED_PAD src0_sel:BYTE_0
	v_cvt_f16_i16_sdwa v213, sext(v213) dst_sel:DWORD dst_unused:UNUSED_PAD src0_sel:BYTE_0
	v_pack_b32_f16 v34, v34, v213
	v_lshrrev_b32_e32 v213, 8, v46
	v_cvt_f16_i16_sdwa v46, sext(v46) dst_sel:DWORD dst_unused:UNUSED_PAD src0_sel:BYTE_0
	v_pk_mul_f16 v34, v34, v122
	v_cvt_f16_i16_sdwa v213, sext(v213) dst_sel:DWORD dst_unused:UNUSED_PAD src0_sel:BYTE_0
	s_waitcnt vmcnt(0)
	v_mul_u32_u24_e32 v122, 0x10001, v123
	v_pack_b32_f16 v46, v46, v213
	v_pk_mul_f16 v123, v128, v122
	v_pk_mul_f16 v46, v46, v122
	v_mul_u32_u24_sdwa v122, v35, v208 dst_sel:DWORD dst_unused:UNUSED_PAD src0_sel:WORD_0 src1_sel:DWORD
	v_mul_u32_u24_sdwa v35, v35, v208 dst_sel:DWORD dst_unused:UNUSED_PAD src0_sel:WORD_1 src1_sel:DWORD
	v_pk_fma_f16 v213, v124, v122, v209
	v_pk_fma_f16 v215, v123, v122, v211
	;; [unrolled: 1-line block ×4, first 2 shown]
	v_mul_u32_u24_sdwa v122, v47, v208 dst_sel:DWORD dst_unused:UNUSED_PAD src0_sel:WORD_0 src1_sel:DWORD
	ds_write_b128 v127, v[213:216]
	v_pk_fma_f16 v209, v124, v122, v50
	v_add_co_u32 v50, vcc_lo, v189, s2
	v_pk_fma_f16 v210, v34, v122, v51
	v_add_co_ci_u32_e64 v51, null, 0, v248, vcc_lo
	v_mov_b32_e32 v189, v121
	v_pk_fma_f16 v212, v46, v122, v53
	v_pk_fma_f16 v211, v123, v122, v52
	global_load_dword v34, v[50:51], off
	v_add_co_u32 v50, vcc_lo, v56, s2
	v_add_co_ci_u32_e64 v51, null, 0, v189, vcc_lo
	ds_write_b128 v127, v[209:212] offset:16
	v_mov_b32_e32 v121, v132
	global_load_ushort v46, v[50:51], off
	v_add_co_u32 v50, vcc_lo, v249, s2
	v_add_co_ci_u32_e64 v51, null, 0, v246, vcc_lo
	global_load_dword v52, v[50:51], off
	v_add_co_u32 v50, vcc_lo, v241, s2
	v_add_co_ci_u32_e64 v51, null, 0, v13, vcc_lo
	v_mov_b32_e32 v13, v24
	global_load_ushort v50, v[50:51], off
	s_waitcnt vmcnt(3)
	v_ashrrev_i32_e32 v34, v1, v34
	v_and_b32_e32 v34, 0xf0f0f0f, v34
	s_waitcnt vmcnt(2)
	v_mul_u32_u24_e32 v46, 0x10001, v46
	v_lshlrev_b16 v51, 8, v34
	v_and_b32_e32 v53, 0xf00, v34
	v_lshrrev_b32_e32 v34, 16, v34
	v_add_nc_u16 v51, 0xf800, v51
	v_or_b32_sdwa v51, v53, v51 dst_sel:DWORD dst_unused:UNUSED_PAD src0_sel:DWORD src1_sel:BYTE_1
	v_lshlrev_b16 v53, 8, v34
	v_and_b32_e32 v34, 0xf00, v34
	s_waitcnt vmcnt(0)
	v_mul_u32_u24_e32 v50, 0x10001, v50
	v_add_nc_u16 v51, 0xf800, v51
	v_add_nc_u16 v53, 0xf800, v53
	v_or_b32_sdwa v34, v34, v53 dst_sel:DWORD dst_unused:UNUSED_PAD src0_sel:DWORD src1_sel:BYTE_1
	v_lshrrev_b32_e32 v53, 8, v51
	v_cvt_f16_i16_sdwa v51, sext(v51) dst_sel:DWORD dst_unused:UNUSED_PAD src0_sel:BYTE_0
	v_add_nc_u16 v34, 0xf800, v34
	v_cvt_f16_i16_sdwa v53, sext(v53) dst_sel:DWORD dst_unused:UNUSED_PAD src0_sel:BYTE_0
	v_pack_b32_f16 v51, v51, v53
	v_lshrrev_b32_e32 v53, 8, v34
	v_cvt_f16_i16_sdwa v34, sext(v34) dst_sel:DWORD dst_unused:UNUSED_PAD src0_sel:BYTE_0
	v_pk_mul_f16 v122, v51, v46
	v_cvt_f16_i16_sdwa v53, sext(v53) dst_sel:DWORD dst_unused:UNUSED_PAD src0_sel:BYTE_0
	v_pack_b32_f16 v34, v34, v53
	v_pk_mul_f16 v34, v34, v46
	v_ashrrev_i32_e32 v46, v1, v52
	v_and_b32_e32 v46, 0xf0f0f0f, v46
	v_lshlrev_b16 v51, 8, v46
	v_and_b32_e32 v52, 0xf00, v46
	v_lshrrev_b32_e32 v46, 16, v46
	v_add_nc_u16 v51, 0xf800, v51
	v_or_b32_sdwa v51, v52, v51 dst_sel:DWORD dst_unused:UNUSED_PAD src0_sel:DWORD src1_sel:BYTE_1
	v_lshlrev_b16 v52, 8, v46
	v_and_b32_e32 v46, 0xf00, v46
	v_add_nc_u16 v51, 0xf800, v51
	v_add_nc_u16 v52, 0xf800, v52
	v_or_b32_sdwa v46, v46, v52 dst_sel:DWORD dst_unused:UNUSED_PAD src0_sel:DWORD src1_sel:BYTE_1
	v_lshrrev_b32_e32 v52, 8, v51
	v_cvt_f16_i16_sdwa v51, sext(v51) dst_sel:DWORD dst_unused:UNUSED_PAD src0_sel:BYTE_0
	v_add_nc_u16 v46, 0xf800, v46
	v_cvt_f16_i16_sdwa v52, sext(v52) dst_sel:DWORD dst_unused:UNUSED_PAD src0_sel:BYTE_0
	v_pack_b32_f16 v51, v51, v52
	v_lshrrev_b32_e32 v52, 8, v46
	v_cvt_f16_i16_sdwa v46, sext(v46) dst_sel:DWORD dst_unused:UNUSED_PAD src0_sel:BYTE_0
	v_pk_mul_f16 v123, v51, v50
	v_cvt_f16_i16_sdwa v52, sext(v52) dst_sel:DWORD dst_unused:UNUSED_PAD src0_sel:BYTE_0
	v_pk_fma_f16 v51, v34, v35, v214
	v_pack_b32_f16 v46, v46, v52
	v_pk_fma_f16 v52, v123, v35, v215
	v_pk_mul_f16 v46, v46, v50
	v_pk_fma_f16 v50, v122, v35, v213
	v_pk_fma_f16 v53, v46, v35, v216
	v_mul_u32_u24_sdwa v35, v47, v208 dst_sel:DWORD dst_unused:UNUSED_PAD src0_sel:WORD_1 src1_sel:DWORD
	ds_write_b128 v127, v[50:53]
	v_pk_fma_f16 v214, v34, v35, v210
	v_add_co_u32 v34, vcc_lo, v170, s2
	v_pk_fma_f16 v213, v122, v35, v209
	v_pk_fma_f16 v215, v123, v35, v211
	;; [unrolled: 1-line block ×3, first 2 shown]
	v_add_co_ci_u32_e64 v35, null, 0, v226, vcc_lo
	ds_write_b128 v127, v[213:216] offset:16
	global_load_dword v46, v[34:35], off
	v_add_co_u32 v34, vcc_lo, v230, s2
	v_add_co_ci_u32_e64 v35, null, 0, v247, vcc_lo
	v_mov_b32_e32 v230, v242
	global_load_ushort v47, v[34:35], off
	v_add_co_u32 v34, vcc_lo, v255, s2
	v_add_co_ci_u32_e64 v35, null, 0, v238, vcc_lo
	global_load_dword v122, v[34:35], off
	v_add_co_u32 v34, vcc_lo, v221, s2
	v_add_co_ci_u32_e64 v35, null, 0, v230, vcc_lo
	global_load_ushort v34, v[34:35], off
	s_waitcnt vmcnt(3)
	v_ashrrev_i32_e32 v35, v1, v46
	v_and_b32_e32 v35, 0xf0f0f0f, v35
	s_waitcnt vmcnt(2)
	v_mul_u32_u24_e32 v47, 0x10001, v47
	v_lshlrev_b16 v46, 8, v35
	v_and_b32_e32 v123, 0xf00, v35
	v_lshrrev_b32_e32 v35, 16, v35
	v_add_nc_u16 v46, 0xf800, v46
	v_or_b32_sdwa v46, v123, v46 dst_sel:DWORD dst_unused:UNUSED_PAD src0_sel:DWORD src1_sel:BYTE_1
	v_lshlrev_b16 v123, 8, v35
	v_and_b32_e32 v35, 0xf00, v35
	s_waitcnt vmcnt(0)
	v_mul_u32_u24_e32 v34, 0x10001, v34
	v_add_nc_u16 v46, 0xf800, v46
	v_add_nc_u16 v123, 0xf800, v123
	v_or_b32_sdwa v35, v35, v123 dst_sel:DWORD dst_unused:UNUSED_PAD src0_sel:DWORD src1_sel:BYTE_1
	v_lshrrev_b32_e32 v123, 8, v46
	v_cvt_f16_i16_sdwa v46, sext(v46) dst_sel:DWORD dst_unused:UNUSED_PAD src0_sel:BYTE_0
	v_add_nc_u16 v35, 0xf800, v35
	v_cvt_f16_i16_sdwa v123, sext(v123) dst_sel:DWORD dst_unused:UNUSED_PAD src0_sel:BYTE_0
	v_pack_b32_f16 v46, v46, v123
	v_lshrrev_b32_e32 v123, 8, v35
	v_cvt_f16_i16_sdwa v35, sext(v35) dst_sel:DWORD dst_unused:UNUSED_PAD src0_sel:BYTE_0
	v_pk_mul_f16 v46, v46, v47
	v_cvt_f16_i16_sdwa v123, sext(v123) dst_sel:DWORD dst_unused:UNUSED_PAD src0_sel:BYTE_0
	v_pack_b32_f16 v35, v35, v123
	v_pk_mul_f16 v35, v35, v47
	v_ashrrev_i32_e32 v47, v1, v122
	v_and_b32_e32 v47, 0xf0f0f0f, v47
	v_lshlrev_b16 v122, 8, v47
	v_and_b32_e32 v123, 0xf00, v47
	v_lshrrev_b32_e32 v47, 16, v47
	v_add_nc_u16 v122, 0xf800, v122
	v_or_b32_sdwa v122, v123, v122 dst_sel:DWORD dst_unused:UNUSED_PAD src0_sel:DWORD src1_sel:BYTE_1
	v_lshlrev_b16 v123, 8, v47
	v_and_b32_e32 v47, 0xf00, v47
	v_add_nc_u16 v122, 0xf800, v122
	v_add_nc_u16 v123, 0xf800, v123
	v_or_b32_sdwa v47, v47, v123 dst_sel:DWORD dst_unused:UNUSED_PAD src0_sel:DWORD src1_sel:BYTE_1
	v_lshrrev_b32_e32 v123, 8, v122
	v_cvt_f16_i16_sdwa v122, sext(v122) dst_sel:DWORD dst_unused:UNUSED_PAD src0_sel:BYTE_0
	v_add_nc_u16 v47, 0xf800, v47
	v_cvt_f16_i16_sdwa v123, sext(v123) dst_sel:DWORD dst_unused:UNUSED_PAD src0_sel:BYTE_0
	v_pack_b32_f16 v122, v122, v123
	v_lshrrev_b32_e32 v123, 8, v47
	v_cvt_f16_i16_sdwa v47, sext(v47) dst_sel:DWORD dst_unused:UNUSED_PAD src0_sel:BYTE_0
	v_pk_mul_f16 v122, v122, v34
	v_cvt_f16_i16_sdwa v123, sext(v123) dst_sel:DWORD dst_unused:UNUSED_PAD src0_sel:BYTE_0
	v_pack_b32_f16 v47, v47, v123
	v_pk_mul_f16 v34, v47, v34
	v_mul_u32_u24_sdwa v47, v36, v208 dst_sel:DWORD dst_unused:UNUSED_PAD src0_sel:WORD_0 src1_sel:DWORD
	v_mul_u32_u24_sdwa v36, v36, v208 dst_sel:DWORD dst_unused:UNUSED_PAD src0_sel:WORD_1 src1_sel:DWORD
	v_pk_fma_f16 v209, v46, v47, v50
	v_pk_fma_f16 v210, v35, v47, v51
	;; [unrolled: 1-line block ×4, first 2 shown]
	v_mul_u32_u24_sdwa v47, v48, v208 dst_sel:DWORD dst_unused:UNUSED_PAD src0_sel:WORD_0 src1_sel:DWORD
	ds_write_b128 v127, v[209:212]
	v_pk_fma_f16 v53, v34, v47, v216
	v_add_co_u32 v34, vcc_lo, v253, s2
	v_pk_fma_f16 v51, v35, v47, v214
	v_add_co_ci_u32_e64 v35, null, 0, v223, vcc_lo
	v_pk_fma_f16 v50, v46, v47, v213
	v_pk_fma_f16 v52, v122, v47, v215
	global_load_dword v46, v[34:35], off
	v_add_co_u32 v34, vcc_lo, v239, s2
	v_add_co_ci_u32_e64 v35, null, 0, v254, vcc_lo
	ds_write_b128 v127, v[50:53] offset:16
	v_mov_b32_e32 v254, v57
	v_mov_b32_e32 v57, v60
	global_load_ushort v47, v[34:35], off
	v_add_co_u32 v34, vcc_lo, v165, s2
	v_add_co_ci_u32_e64 v35, null, 0, v161, vcc_lo
	global_load_dword v122, v[34:35], off
	v_add_co_u32 v34, vcc_lo, v235, s2
	v_add_co_ci_u32_e64 v35, null, 0, v120, vcc_lo
	v_mov_b32_e32 v120, v230
	global_load_ushort v34, v[34:35], off
	s_waitcnt vmcnt(3)
	v_ashrrev_i32_e32 v35, v1, v46
	v_and_b32_e32 v35, 0xf0f0f0f, v35
	s_waitcnt vmcnt(2)
	v_mul_u32_u24_e32 v47, 0x10001, v47
	v_lshlrev_b16 v46, 8, v35
	v_and_b32_e32 v123, 0xf00, v35
	v_lshrrev_b32_e32 v35, 16, v35
	v_add_nc_u16 v46, 0xf800, v46
	v_or_b32_sdwa v46, v123, v46 dst_sel:DWORD dst_unused:UNUSED_PAD src0_sel:DWORD src1_sel:BYTE_1
	v_lshlrev_b16 v123, 8, v35
	v_and_b32_e32 v35, 0xf00, v35
	s_waitcnt vmcnt(0)
	v_mul_u32_u24_e32 v34, 0x10001, v34
	v_add_nc_u16 v46, 0xf800, v46
	v_add_nc_u16 v123, 0xf800, v123
	v_or_b32_sdwa v35, v35, v123 dst_sel:DWORD dst_unused:UNUSED_PAD src0_sel:DWORD src1_sel:BYTE_1
	v_lshrrev_b32_e32 v123, 8, v46
	v_cvt_f16_i16_sdwa v46, sext(v46) dst_sel:DWORD dst_unused:UNUSED_PAD src0_sel:BYTE_0
	v_add_nc_u16 v35, 0xf800, v35
	v_cvt_f16_i16_sdwa v123, sext(v123) dst_sel:DWORD dst_unused:UNUSED_PAD src0_sel:BYTE_0
	v_pack_b32_f16 v46, v46, v123
	v_lshrrev_b32_e32 v123, 8, v35
	v_cvt_f16_i16_sdwa v35, sext(v35) dst_sel:DWORD dst_unused:UNUSED_PAD src0_sel:BYTE_0
	v_pk_mul_f16 v46, v46, v47
	v_cvt_f16_i16_sdwa v123, sext(v123) dst_sel:DWORD dst_unused:UNUSED_PAD src0_sel:BYTE_0
	v_pk_fma_f16 v213, v46, v36, v209
	v_pack_b32_f16 v35, v35, v123
	v_pk_mul_f16 v35, v35, v47
	v_ashrrev_i32_e32 v47, v1, v122
	v_pk_fma_f16 v214, v35, v36, v210
	v_and_b32_e32 v47, 0xf0f0f0f, v47
	v_lshlrev_b16 v122, 8, v47
	v_and_b32_e32 v123, 0xf00, v47
	v_lshrrev_b32_e32 v47, 16, v47
	v_add_nc_u16 v122, 0xf800, v122
	v_or_b32_sdwa v122, v123, v122 dst_sel:DWORD dst_unused:UNUSED_PAD src0_sel:DWORD src1_sel:BYTE_1
	v_lshlrev_b16 v123, 8, v47
	v_and_b32_e32 v47, 0xf00, v47
	v_add_nc_u16 v122, 0xf800, v122
	v_add_nc_u16 v123, 0xf800, v123
	v_or_b32_sdwa v47, v47, v123 dst_sel:DWORD dst_unused:UNUSED_PAD src0_sel:DWORD src1_sel:BYTE_1
	v_lshrrev_b32_e32 v123, 8, v122
	v_cvt_f16_i16_sdwa v122, sext(v122) dst_sel:DWORD dst_unused:UNUSED_PAD src0_sel:BYTE_0
	v_add_nc_u16 v47, 0xf800, v47
	v_cvt_f16_i16_sdwa v123, sext(v123) dst_sel:DWORD dst_unused:UNUSED_PAD src0_sel:BYTE_0
	v_pack_b32_f16 v122, v122, v123
	v_lshrrev_b32_e32 v123, 8, v47
	v_cvt_f16_i16_sdwa v47, sext(v47) dst_sel:DWORD dst_unused:UNUSED_PAD src0_sel:BYTE_0
	v_pk_mul_f16 v122, v122, v34
	v_cvt_f16_i16_sdwa v123, sext(v123) dst_sel:DWORD dst_unused:UNUSED_PAD src0_sel:BYTE_0
	v_pk_fma_f16 v215, v122, v36, v211
	v_pack_b32_f16 v47, v47, v123
	v_pk_mul_f16 v34, v47, v34
	v_pk_fma_f16 v216, v34, v36, v212
	v_mul_u32_u24_sdwa v36, v48, v208 dst_sel:DWORD dst_unused:UNUSED_PAD src0_sel:WORD_1 src1_sel:DWORD
	ds_write_b128 v127, v[213:216]
	v_pk_fma_f16 v212, v34, v36, v53
	v_add_co_u32 v34, vcc_lo, v33, s2
	v_pk_fma_f16 v210, v35, v36, v51
	v_add_co_ci_u32_e64 v35, null, 0, v224, vcc_lo
	v_pk_fma_f16 v209, v46, v36, v50
	v_pk_fma_f16 v211, v122, v36, v52
	v_mov_b32_e32 v224, v198
	global_load_dword v36, v[34:35], off
	v_add_co_u32 v34, vcc_lo, v32, s2
	v_add_co_ci_u32_e64 v35, null, 0, v218, vcc_lo
	ds_write_b128 v127, v[209:212] offset:16
	global_load_ushort v46, v[34:35], off
	v_add_co_u32 v34, vcc_lo, v26, s2
	v_add_co_ci_u32_e64 v35, null, 0, v25, vcc_lo
	global_load_dword v47, v[34:35], off
	v_add_co_u32 v34, vcc_lo, v31, s2
	v_add_co_ci_u32_e64 v35, null, 0, v30, vcc_lo
	global_load_ushort v34, v[34:35], off
	s_waitcnt vmcnt(3)
	v_ashrrev_i32_e32 v35, v1, v36
	v_and_b32_e32 v35, 0xf0f0f0f, v35
	s_waitcnt vmcnt(2)
	v_mul_u32_u24_e32 v46, 0x10001, v46
	v_lshlrev_b16 v36, 8, v35
	v_and_b32_e32 v48, 0xf00, v35
	v_lshrrev_b32_e32 v35, 16, v35
	v_add_nc_u16 v36, 0xf800, v36
	v_or_b32_sdwa v36, v48, v36 dst_sel:DWORD dst_unused:UNUSED_PAD src0_sel:DWORD src1_sel:BYTE_1
	v_lshlrev_b16 v48, 8, v35
	v_and_b32_e32 v35, 0xf00, v35
	s_waitcnt vmcnt(0)
	v_mul_u32_u24_e32 v34, 0x10001, v34
	v_add_nc_u16 v36, 0xf800, v36
	v_add_nc_u16 v48, 0xf800, v48
	v_or_b32_sdwa v35, v35, v48 dst_sel:DWORD dst_unused:UNUSED_PAD src0_sel:DWORD src1_sel:BYTE_1
	v_lshrrev_b32_e32 v48, 8, v36
	v_cvt_f16_i16_sdwa v36, sext(v36) dst_sel:DWORD dst_unused:UNUSED_PAD src0_sel:BYTE_0
	v_add_nc_u16 v35, 0xf800, v35
	v_cvt_f16_i16_sdwa v48, sext(v48) dst_sel:DWORD dst_unused:UNUSED_PAD src0_sel:BYTE_0
	v_pack_b32_f16 v36, v36, v48
	v_lshrrev_b32_e32 v48, 8, v35
	v_cvt_f16_i16_sdwa v35, sext(v35) dst_sel:DWORD dst_unused:UNUSED_PAD src0_sel:BYTE_0
	v_pk_mul_f16 v36, v36, v46
	v_cvt_f16_i16_sdwa v48, sext(v48) dst_sel:DWORD dst_unused:UNUSED_PAD src0_sel:BYTE_0
	v_pack_b32_f16 v35, v35, v48
	v_pk_mul_f16 v35, v35, v46
	v_ashrrev_i32_e32 v46, v1, v47
	v_and_b32_e32 v46, 0xf0f0f0f, v46
	v_lshlrev_b16 v47, 8, v46
	v_and_b32_e32 v48, 0xf00, v46
	v_lshrrev_b32_e32 v46, 16, v46
	v_add_nc_u16 v47, 0xf800, v47
	v_or_b32_sdwa v47, v48, v47 dst_sel:DWORD dst_unused:UNUSED_PAD src0_sel:DWORD src1_sel:BYTE_1
	v_lshlrev_b16 v48, 8, v46
	v_and_b32_e32 v46, 0xf00, v46
	v_add_nc_u16 v47, 0xf800, v47
	v_add_nc_u16 v48, 0xf800, v48
	v_or_b32_sdwa v46, v46, v48 dst_sel:DWORD dst_unused:UNUSED_PAD src0_sel:DWORD src1_sel:BYTE_1
	v_lshrrev_b32_e32 v48, 8, v47
	v_cvt_f16_i16_sdwa v47, sext(v47) dst_sel:DWORD dst_unused:UNUSED_PAD src0_sel:BYTE_0
	v_add_nc_u16 v46, 0xf800, v46
	v_cvt_f16_i16_sdwa v48, sext(v48) dst_sel:DWORD dst_unused:UNUSED_PAD src0_sel:BYTE_0
	v_pack_b32_f16 v47, v47, v48
	v_lshrrev_b32_e32 v48, 8, v46
	v_cvt_f16_i16_sdwa v46, sext(v46) dst_sel:DWORD dst_unused:UNUSED_PAD src0_sel:BYTE_0
	v_pk_mul_f16 v47, v47, v34
	v_cvt_f16_i16_sdwa v48, sext(v48) dst_sel:DWORD dst_unused:UNUSED_PAD src0_sel:BYTE_0
	v_pack_b32_f16 v46, v46, v48
	v_pk_mul_f16 v34, v46, v34
	v_mul_u32_u24_sdwa v46, v37, v208 dst_sel:DWORD dst_unused:UNUSED_PAD src0_sel:WORD_0 src1_sel:DWORD
	v_mul_u32_u24_sdwa v37, v37, v208 dst_sel:DWORD dst_unused:UNUSED_PAD src0_sel:WORD_1 src1_sel:DWORD
	v_pk_fma_f16 v50, v36, v46, v213
	v_pk_fma_f16 v51, v35, v46, v214
	;; [unrolled: 1-line block ×4, first 2 shown]
	v_mul_u32_u24_sdwa v46, v49, v208 dst_sel:DWORD dst_unused:UNUSED_PAD src0_sel:WORD_0 src1_sel:DWORD
	v_mul_u32_u24_sdwa v49, v49, v208 dst_sel:DWORD dst_unused:UNUSED_PAD src0_sel:WORD_1 src1_sel:DWORD
	ds_write_b128 v127, v[50:53]
	v_pk_fma_f16 v216, v34, v46, v212
	v_add_co_u32 v34, vcc_lo, v28, s2
	v_pk_fma_f16 v214, v35, v46, v210
	v_add_co_ci_u32_e64 v35, null, 0, v29, vcc_lo
	v_pk_fma_f16 v213, v36, v46, v209
	v_pk_fma_f16 v215, v47, v46, v211
	global_load_dword v36, v[34:35], off
	v_add_co_u32 v34, vcc_lo, v23, s2
	v_add_co_ci_u32_e64 v35, null, 0, v13, vcc_lo
	ds_write_b128 v127, v[213:216] offset:16
	global_load_ushort v46, v[34:35], off
	v_add_co_u32 v34, vcc_lo, v243, s2
	v_add_co_ci_u32_e64 v35, null, 0, v22, vcc_lo
	v_mov_b32_e32 v243, v234
	v_mov_b32_e32 v234, v179
	;; [unrolled: 1-line block ×3, first 2 shown]
	global_load_dword v47, v[34:35], off
	v_add_co_u32 v34, vcc_lo, v20, s2
	v_add_co_ci_u32_e64 v35, null, 0, v27, vcc_lo
	global_load_ushort v34, v[34:35], off
	s_waitcnt vmcnt(3)
	v_ashrrev_i32_e32 v35, v1, v36
	v_and_b32_e32 v35, 0xf0f0f0f, v35
	s_waitcnt vmcnt(2)
	v_mul_u32_u24_e32 v46, 0x10001, v46
	v_lshlrev_b16 v36, 8, v35
	v_and_b32_e32 v48, 0xf00, v35
	v_lshrrev_b32_e32 v35, 16, v35
	v_add_nc_u16 v36, 0xf800, v36
	v_or_b32_sdwa v36, v48, v36 dst_sel:DWORD dst_unused:UNUSED_PAD src0_sel:DWORD src1_sel:BYTE_1
	v_lshlrev_b16 v48, 8, v35
	v_and_b32_e32 v35, 0xf00, v35
	s_waitcnt vmcnt(0)
	v_mul_u32_u24_e32 v34, 0x10001, v34
	v_add_nc_u16 v36, 0xf800, v36
	v_add_nc_u16 v48, 0xf800, v48
	v_or_b32_sdwa v35, v35, v48 dst_sel:DWORD dst_unused:UNUSED_PAD src0_sel:DWORD src1_sel:BYTE_1
	v_lshrrev_b32_e32 v48, 8, v36
	v_cvt_f16_i16_sdwa v36, sext(v36) dst_sel:DWORD dst_unused:UNUSED_PAD src0_sel:BYTE_0
	v_add_nc_u16 v35, 0xf800, v35
	v_cvt_f16_i16_sdwa v48, sext(v48) dst_sel:DWORD dst_unused:UNUSED_PAD src0_sel:BYTE_0
	v_pack_b32_f16 v36, v36, v48
	v_lshrrev_b32_e32 v48, 8, v35
	v_cvt_f16_i16_sdwa v35, sext(v35) dst_sel:DWORD dst_unused:UNUSED_PAD src0_sel:BYTE_0
	v_cvt_f16_i16_sdwa v48, sext(v48) dst_sel:DWORD dst_unused:UNUSED_PAD src0_sel:BYTE_0
	v_pack_b32_f16 v35, v35, v48
	v_pk_mul_f16 v48, v36, v46
	v_pk_mul_f16 v122, v35, v46
	v_ashrrev_i32_e32 v35, v1, v47
	v_pk_fma_f16 v47, v122, v49, v214
	v_and_b32_e32 v35, 0xf0f0f0f, v35
	v_lshlrev_b16 v36, 8, v35
	v_and_b32_e32 v46, 0xf00, v35
	v_lshrrev_b32_e32 v35, 16, v35
	v_add_nc_u16 v36, 0xf800, v36
	v_or_b32_sdwa v36, v46, v36 dst_sel:DWORD dst_unused:UNUSED_PAD src0_sel:DWORD src1_sel:BYTE_1
	v_lshlrev_b16 v46, 8, v35
	v_and_b32_e32 v35, 0xf00, v35
	v_add_nc_u16 v36, 0xf800, v36
	v_add_nc_u16 v46, 0xf800, v46
	v_or_b32_sdwa v35, v35, v46 dst_sel:DWORD dst_unused:UNUSED_PAD src0_sel:DWORD src1_sel:BYTE_1
	v_lshrrev_b32_e32 v46, 8, v36
	v_cvt_f16_i16_sdwa v36, sext(v36) dst_sel:DWORD dst_unused:UNUSED_PAD src0_sel:BYTE_0
	v_add_nc_u16 v35, 0xf800, v35
	v_cvt_f16_i16_sdwa v46, sext(v46) dst_sel:DWORD dst_unused:UNUSED_PAD src0_sel:BYTE_0
	v_pack_b32_f16 v36, v36, v46
	v_lshrrev_b32_e32 v46, 8, v35
	v_cvt_f16_i16_sdwa v35, sext(v35) dst_sel:DWORD dst_unused:UNUSED_PAD src0_sel:BYTE_0
	v_pk_mul_f16 v123, v36, v34
	v_cvt_f16_i16_sdwa v46, sext(v46) dst_sel:DWORD dst_unused:UNUSED_PAD src0_sel:BYTE_0
	v_pk_fma_f16 v36, v123, v37, v52
	v_pack_b32_f16 v35, v35, v46
	v_pk_fma_f16 v46, v48, v49, v213
	v_pk_mul_f16 v124, v35, v34
	v_pk_fma_f16 v34, v48, v37, v50
	v_add_co_u32 v50, vcc_lo, v14, s2
	v_pk_fma_f16 v35, v122, v37, v51
	v_add_co_ci_u32_e64 v51, null, 0, v15, vcc_lo
	v_pk_fma_f16 v37, v124, v37, v53
	v_pk_fma_f16 v48, v123, v49, v215
	;; [unrolled: 1-line block ×3, first 2 shown]
	global_load_dword v52, v[50:51], off
	v_add_co_u32 v50, vcc_lo, v16, s2
	v_add_co_ci_u32_e64 v51, null, 0, v18, vcc_lo
	ds_write_b128 v127, v[34:37]
	ds_write_b128 v127, v[46:49] offset:16
	global_load_ushort v53, v[50:51], off
	v_add_co_u32 v50, vcc_lo, v17, s2
	v_add_co_ci_u32_e64 v51, null, 0, v19, vcc_lo
	global_load_dword v122, v[50:51], off
	v_add_co_u32 v50, vcc_lo, v129, s2
	v_add_co_ci_u32_e64 v51, null, 0, v21, vcc_lo
	global_load_ushort v50, v[50:51], off
	s_waitcnt vmcnt(3)
	v_ashrrev_i32_e32 v51, v1, v52
	v_and_b32_e32 v51, 0xf0f0f0f, v51
	s_waitcnt vmcnt(2)
	v_mul_u32_u24_e32 v53, 0x10001, v53
	v_lshlrev_b16 v52, 8, v51
	v_and_b32_e32 v123, 0xf00, v51
	v_lshrrev_b32_e32 v51, 16, v51
	v_add_nc_u16 v52, 0xf800, v52
	v_or_b32_sdwa v52, v123, v52 dst_sel:DWORD dst_unused:UNUSED_PAD src0_sel:DWORD src1_sel:BYTE_1
	v_lshlrev_b16 v123, 8, v51
	v_and_b32_e32 v51, 0xf00, v51
	s_waitcnt vmcnt(0)
	v_mul_u32_u24_e32 v50, 0x10001, v50
	v_add_nc_u16 v52, 0xf800, v52
	v_add_nc_u16 v123, 0xf800, v123
	v_or_b32_sdwa v51, v51, v123 dst_sel:DWORD dst_unused:UNUSED_PAD src0_sel:DWORD src1_sel:BYTE_1
	v_lshrrev_b32_e32 v123, 8, v52
	v_cvt_f16_i16_sdwa v52, sext(v52) dst_sel:DWORD dst_unused:UNUSED_PAD src0_sel:BYTE_0
	v_add_nc_u16 v51, 0xf800, v51
	v_cvt_f16_i16_sdwa v123, sext(v123) dst_sel:DWORD dst_unused:UNUSED_PAD src0_sel:BYTE_0
	v_pack_b32_f16 v52, v52, v123
	v_lshrrev_b32_e32 v123, 8, v51
	v_cvt_f16_i16_sdwa v51, sext(v51) dst_sel:DWORD dst_unused:UNUSED_PAD src0_sel:BYTE_0
	v_cvt_f16_i16_sdwa v123, sext(v123) dst_sel:DWORD dst_unused:UNUSED_PAD src0_sel:BYTE_0
	v_pack_b32_f16 v51, v51, v123
	v_pk_mul_f16 v123, v52, v53
	v_pk_mul_f16 v124, v51, v53
	v_ashrrev_i32_e32 v51, v1, v122
	v_and_b32_e32 v51, 0xf0f0f0f, v51
	v_lshlrev_b16 v52, 8, v51
	v_and_b32_e32 v53, 0xf00, v51
	v_lshrrev_b32_e32 v51, 16, v51
	v_add_nc_u16 v52, 0xf800, v52
	v_or_b32_sdwa v52, v53, v52 dst_sel:DWORD dst_unused:UNUSED_PAD src0_sel:DWORD src1_sel:BYTE_1
	v_lshlrev_b16 v53, 8, v51
	v_and_b32_e32 v51, 0xf00, v51
	v_add_nc_u16 v52, 0xf800, v52
	v_add_nc_u16 v53, 0xf800, v53
	v_or_b32_sdwa v51, v51, v53 dst_sel:DWORD dst_unused:UNUSED_PAD src0_sel:DWORD src1_sel:BYTE_1
	v_lshrrev_b32_e32 v53, 8, v52
	v_cvt_f16_i16_sdwa v52, sext(v52) dst_sel:DWORD dst_unused:UNUSED_PAD src0_sel:BYTE_0
	v_add_nc_u16 v51, 0xf800, v51
	v_cvt_f16_i16_sdwa v53, sext(v53) dst_sel:DWORD dst_unused:UNUSED_PAD src0_sel:BYTE_0
	v_pack_b32_f16 v52, v52, v53
	v_lshrrev_b32_e32 v53, 8, v51
	v_cvt_f16_i16_sdwa v51, sext(v51) dst_sel:DWORD dst_unused:UNUSED_PAD src0_sel:BYTE_0
	v_pk_mul_f16 v122, v52, v50
	v_cvt_f16_i16_sdwa v53, sext(v53) dst_sel:DWORD dst_unused:UNUSED_PAD src0_sel:BYTE_0
	v_pack_b32_f16 v51, v51, v53
	v_mul_u32_u24_sdwa v53, v42, v208 dst_sel:DWORD dst_unused:UNUSED_PAD src0_sel:WORD_0 src1_sel:DWORD
	v_mul_u32_u24_sdwa v42, v42, v208 dst_sel:DWORD dst_unused:UNUSED_PAD src0_sel:WORD_1 src1_sel:DWORD
	v_pk_mul_f16 v128, v51, v50
	v_pk_fma_f16 v50, v123, v53, v34
	v_pk_fma_f16 v51, v124, v53, v35
	;; [unrolled: 1-line block ×4, first 2 shown]
	v_mul_u32_u24_sdwa v37, v38, v208 dst_sel:DWORD dst_unused:UNUSED_PAD src0_sel:WORD_0 src1_sel:DWORD
	v_mul_u32_u24_sdwa v38, v38, v208 dst_sel:DWORD dst_unused:UNUSED_PAD src0_sel:WORD_1 src1_sel:DWORD
	ds_write_b128 v127, v[50:53]
	v_pk_fma_f16 v34, v123, v37, v46
	v_add_co_u32 v46, vcc_lo, v193, s2
	v_pk_fma_f16 v35, v124, v37, v47
	v_add_co_ci_u32_e64 v47, null, 0, v251, vcc_lo
	v_pk_fma_f16 v36, v122, v37, v48
	v_pk_fma_f16 v37, v128, v37, v49
	global_load_dword v48, v[46:47], off
	v_add_co_u32 v46, vcc_lo, v203, s2
	v_add_co_ci_u32_e64 v47, null, 0, v244, vcc_lo
	ds_write_b128 v127, v[34:37] offset:16
	global_load_ushort v49, v[46:47], off
	v_add_co_u32 v46, vcc_lo, v151, s2
	v_add_co_ci_u32_e64 v47, null, 0, v154, vcc_lo
	global_load_dword v122, v[46:47], off
	v_add_co_u32 v46, vcc_lo, v167, s2
	v_add_co_ci_u32_e64 v47, null, 0, v168, vcc_lo
	global_load_ushort v46, v[46:47], off
	s_waitcnt vmcnt(3)
	v_ashrrev_i32_e32 v47, v1, v48
	v_and_b32_e32 v47, 0xf0f0f0f, v47
	s_waitcnt vmcnt(2)
	v_mul_u32_u24_e32 v49, 0x10001, v49
	v_lshlrev_b16 v48, 8, v47
	v_and_b32_e32 v123, 0xf00, v47
	v_lshrrev_b32_e32 v47, 16, v47
	v_add_nc_u16 v48, 0xf800, v48
	v_or_b32_sdwa v48, v123, v48 dst_sel:DWORD dst_unused:UNUSED_PAD src0_sel:DWORD src1_sel:BYTE_1
	v_lshlrev_b16 v123, 8, v47
	v_and_b32_e32 v47, 0xf00, v47
	s_waitcnt vmcnt(0)
	v_mul_u32_u24_e32 v46, 0x10001, v46
	v_add_nc_u16 v48, 0xf800, v48
	v_add_nc_u16 v123, 0xf800, v123
	v_or_b32_sdwa v47, v47, v123 dst_sel:DWORD dst_unused:UNUSED_PAD src0_sel:DWORD src1_sel:BYTE_1
	v_lshrrev_b32_e32 v123, 8, v48
	v_cvt_f16_i16_sdwa v48, sext(v48) dst_sel:DWORD dst_unused:UNUSED_PAD src0_sel:BYTE_0
	v_add_nc_u16 v47, 0xf800, v47
	v_cvt_f16_i16_sdwa v123, sext(v123) dst_sel:DWORD dst_unused:UNUSED_PAD src0_sel:BYTE_0
	v_pack_b32_f16 v48, v48, v123
	v_lshrrev_b32_e32 v123, 8, v47
	v_cvt_f16_i16_sdwa v47, sext(v47) dst_sel:DWORD dst_unused:UNUSED_PAD src0_sel:BYTE_0
	v_cvt_f16_i16_sdwa v123, sext(v123) dst_sel:DWORD dst_unused:UNUSED_PAD src0_sel:BYTE_0
	v_pack_b32_f16 v47, v47, v123
	v_pk_mul_f16 v123, v48, v49
	v_pk_mul_f16 v124, v47, v49
	v_ashrrev_i32_e32 v47, v1, v122
	v_and_b32_e32 v47, 0xf0f0f0f, v47
	v_lshlrev_b16 v48, 8, v47
	v_and_b32_e32 v49, 0xf00, v47
	v_lshrrev_b32_e32 v47, 16, v47
	v_add_nc_u16 v48, 0xf800, v48
	v_or_b32_sdwa v48, v49, v48 dst_sel:DWORD dst_unused:UNUSED_PAD src0_sel:DWORD src1_sel:BYTE_1
	v_lshlrev_b16 v49, 8, v47
	v_and_b32_e32 v47, 0xf00, v47
	v_add_nc_u16 v48, 0xf800, v48
	v_add_nc_u16 v49, 0xf800, v49
	v_or_b32_sdwa v47, v47, v49 dst_sel:DWORD dst_unused:UNUSED_PAD src0_sel:DWORD src1_sel:BYTE_1
	v_lshrrev_b32_e32 v49, 8, v48
	v_cvt_f16_i16_sdwa v48, sext(v48) dst_sel:DWORD dst_unused:UNUSED_PAD src0_sel:BYTE_0
	v_add_nc_u16 v47, 0xf800, v47
	v_cvt_f16_i16_sdwa v49, sext(v49) dst_sel:DWORD dst_unused:UNUSED_PAD src0_sel:BYTE_0
	v_pack_b32_f16 v48, v48, v49
	v_lshrrev_b32_e32 v49, 8, v47
	v_cvt_f16_i16_sdwa v47, sext(v47) dst_sel:DWORD dst_unused:UNUSED_PAD src0_sel:BYTE_0
	v_pk_mul_f16 v122, v48, v46
	v_cvt_f16_i16_sdwa v49, sext(v49) dst_sel:DWORD dst_unused:UNUSED_PAD src0_sel:BYTE_0
	v_pk_fma_f16 v48, v122, v42, v52
	v_pack_b32_f16 v47, v47, v49
	v_pk_fma_f16 v52, v122, v38, v36
	v_pk_mul_f16 v128, v47, v46
	v_pk_fma_f16 v46, v123, v42, v50
	v_pk_fma_f16 v50, v123, v38, v34
	v_add_co_u32 v34, vcc_lo, v227, s2
	v_pk_fma_f16 v47, v124, v42, v51
	v_pk_fma_f16 v51, v124, v38, v35
	v_add_co_ci_u32_e64 v35, null, 0, v228, vcc_lo
	v_pk_fma_f16 v49, v128, v42, v53
	v_pk_fma_f16 v53, v128, v38, v37
	global_load_dword v36, v[34:35], off
	v_add_co_u32 v34, vcc_lo, v141, s2
	v_add_co_ci_u32_e64 v35, null, 0, v229, vcc_lo
	ds_write_b128 v127, v[46:49]
	ds_write_b128 v127, v[50:53] offset:16
	global_load_ushort v37, v[34:35], off
	v_add_co_u32 v34, vcc_lo, v225, s2
	v_add_co_ci_u32_e64 v35, null, 0, v137, vcc_lo
	global_load_dword v38, v[34:35], off
	v_add_co_u32 v34, vcc_lo, v9, s2
	v_add_co_ci_u32_e64 v35, null, 0, v12, vcc_lo
	global_load_ushort v34, v[34:35], off
	s_waitcnt vmcnt(3)
	v_ashrrev_i32_e32 v35, v1, v36
	v_and_b32_e32 v35, 0xf0f0f0f, v35
	s_waitcnt vmcnt(2)
	v_mul_u32_u24_e32 v37, 0x10001, v37
	v_lshlrev_b16 v36, 8, v35
	v_and_b32_e32 v42, 0xf00, v35
	v_lshrrev_b32_e32 v35, 16, v35
	v_add_nc_u16 v36, 0xf800, v36
	v_or_b32_sdwa v36, v42, v36 dst_sel:DWORD dst_unused:UNUSED_PAD src0_sel:DWORD src1_sel:BYTE_1
	v_lshlrev_b16 v42, 8, v35
	v_and_b32_e32 v35, 0xf00, v35
	s_waitcnt vmcnt(0)
	v_mul_u32_u24_e32 v34, 0x10001, v34
	v_add_nc_u16 v36, 0xf800, v36
	v_add_nc_u16 v42, 0xf800, v42
	v_or_b32_sdwa v35, v35, v42 dst_sel:DWORD dst_unused:UNUSED_PAD src0_sel:DWORD src1_sel:BYTE_1
	v_lshrrev_b32_e32 v42, 8, v36
	v_cvt_f16_i16_sdwa v36, sext(v36) dst_sel:DWORD dst_unused:UNUSED_PAD src0_sel:BYTE_0
	v_add_nc_u16 v35, 0xf800, v35
	v_cvt_f16_i16_sdwa v42, sext(v42) dst_sel:DWORD dst_unused:UNUSED_PAD src0_sel:BYTE_0
	v_pack_b32_f16 v36, v36, v42
	v_lshrrev_b32_e32 v42, 8, v35
	v_cvt_f16_i16_sdwa v35, sext(v35) dst_sel:DWORD dst_unused:UNUSED_PAD src0_sel:BYTE_0
	v_cvt_f16_i16_sdwa v42, sext(v42) dst_sel:DWORD dst_unused:UNUSED_PAD src0_sel:BYTE_0
	v_pack_b32_f16 v35, v35, v42
	v_pk_mul_f16 v42, v36, v37
	v_pk_mul_f16 v122, v35, v37
	v_ashrrev_i32_e32 v35, v1, v38
	v_and_b32_e32 v35, 0xf0f0f0f, v35
	v_lshlrev_b16 v36, 8, v35
	v_and_b32_e32 v37, 0xf00, v35
	v_lshrrev_b32_e32 v35, 16, v35
	v_add_nc_u16 v36, 0xf800, v36
	v_or_b32_sdwa v36, v37, v36 dst_sel:DWORD dst_unused:UNUSED_PAD src0_sel:DWORD src1_sel:BYTE_1
	v_lshlrev_b16 v37, 8, v35
	v_and_b32_e32 v35, 0xf00, v35
	v_add_nc_u16 v36, 0xf800, v36
	v_add_nc_u16 v37, 0xf800, v37
	v_or_b32_sdwa v35, v35, v37 dst_sel:DWORD dst_unused:UNUSED_PAD src0_sel:DWORD src1_sel:BYTE_1
	v_lshrrev_b32_e32 v37, 8, v36
	v_cvt_f16_i16_sdwa v36, sext(v36) dst_sel:DWORD dst_unused:UNUSED_PAD src0_sel:BYTE_0
	v_add_nc_u16 v35, 0xf800, v35
	v_cvt_f16_i16_sdwa v37, sext(v37) dst_sel:DWORD dst_unused:UNUSED_PAD src0_sel:BYTE_0
	v_pack_b32_f16 v36, v36, v37
	v_lshrrev_b32_e32 v37, 8, v35
	v_cvt_f16_i16_sdwa v35, sext(v35) dst_sel:DWORD dst_unused:UNUSED_PAD src0_sel:BYTE_0
	v_pk_mul_f16 v38, v36, v34
	v_cvt_f16_i16_sdwa v37, sext(v37) dst_sel:DWORD dst_unused:UNUSED_PAD src0_sel:BYTE_0
	v_pack_b32_f16 v35, v35, v37
	v_mul_u32_u24_sdwa v37, v43, v208 dst_sel:DWORD dst_unused:UNUSED_PAD src0_sel:WORD_0 src1_sel:DWORD
	v_mul_u32_u24_sdwa v43, v43, v208 dst_sel:DWORD dst_unused:UNUSED_PAD src0_sel:WORD_1 src1_sel:DWORD
	v_pk_mul_f16 v123, v35, v34
	v_pk_fma_f16 v34, v42, v37, v46
	v_pk_fma_f16 v35, v122, v37, v47
	;; [unrolled: 1-line block ×4, first 2 shown]
	v_mul_u32_u24_sdwa v49, v39, v208 dst_sel:DWORD dst_unused:UNUSED_PAD src0_sel:WORD_0 src1_sel:DWORD
	ds_write_b128 v127, v[34:37]
	v_pk_fma_f16 v46, v42, v49, v50
	v_add_co_u32 v50, vcc_lo, v240, s2
	v_pk_fma_f16 v47, v122, v49, v51
	v_add_co_ci_u32_e64 v51, null, 0, v220, vcc_lo
	v_pk_fma_f16 v48, v38, v49, v52
	v_pk_fma_f16 v49, v123, v49, v53
	global_load_dword v38, v[50:51], off
	v_add_co_u32 v50, vcc_lo, v7, s2
	v_add_co_ci_u32_e64 v51, null, 0, v130, vcc_lo
	ds_write_b128 v127, v[46:49] offset:16
	global_load_ushort v42, v[50:51], off
	v_add_co_u32 v50, vcc_lo, v148, s2
	v_add_co_ci_u32_e64 v51, null, 0, v152, vcc_lo
	global_load_dword v52, v[50:51], off
	v_add_co_u32 v50, vcc_lo, v2, s2
	v_add_co_ci_u32_e64 v51, null, 0, v8, vcc_lo
	global_load_ushort v50, v[50:51], off
	s_waitcnt vmcnt(3)
	v_ashrrev_i32_e32 v38, v1, v38
	v_and_b32_e32 v38, 0xf0f0f0f, v38
	s_waitcnt vmcnt(2)
	v_mul_u32_u24_e32 v42, 0x10001, v42
	v_lshlrev_b16 v51, 8, v38
	v_and_b32_e32 v53, 0xf00, v38
	v_lshrrev_b32_e32 v38, 16, v38
	v_add_nc_u16 v51, 0xf800, v51
	v_or_b32_sdwa v51, v53, v51 dst_sel:DWORD dst_unused:UNUSED_PAD src0_sel:DWORD src1_sel:BYTE_1
	v_lshlrev_b16 v53, 8, v38
	v_and_b32_e32 v38, 0xf00, v38
	s_waitcnt vmcnt(0)
	v_mul_u32_u24_e32 v50, 0x10001, v50
	v_add_nc_u16 v51, 0xf800, v51
	v_add_nc_u16 v53, 0xf800, v53
	v_or_b32_sdwa v38, v38, v53 dst_sel:DWORD dst_unused:UNUSED_PAD src0_sel:DWORD src1_sel:BYTE_1
	v_lshrrev_b32_e32 v53, 8, v51
	v_cvt_f16_i16_sdwa v51, sext(v51) dst_sel:DWORD dst_unused:UNUSED_PAD src0_sel:BYTE_0
	v_add_nc_u16 v38, 0xf800, v38
	v_cvt_f16_i16_sdwa v53, sext(v53) dst_sel:DWORD dst_unused:UNUSED_PAD src0_sel:BYTE_0
	v_pack_b32_f16 v51, v51, v53
	v_lshrrev_b32_e32 v53, 8, v38
	v_cvt_f16_i16_sdwa v38, sext(v38) dst_sel:DWORD dst_unused:UNUSED_PAD src0_sel:BYTE_0
	v_pk_mul_f16 v122, v51, v42
	v_cvt_f16_i16_sdwa v53, sext(v53) dst_sel:DWORD dst_unused:UNUSED_PAD src0_sel:BYTE_0
	v_pack_b32_f16 v38, v38, v53
	v_pk_mul_f16 v38, v38, v42
	v_ashrrev_i32_e32 v42, v1, v52
	v_and_b32_e32 v42, 0xf0f0f0f, v42
	v_lshlrev_b16 v51, 8, v42
	v_and_b32_e32 v52, 0xf00, v42
	v_lshrrev_b32_e32 v42, 16, v42
	v_add_nc_u16 v51, 0xf800, v51
	v_or_b32_sdwa v51, v52, v51 dst_sel:DWORD dst_unused:UNUSED_PAD src0_sel:DWORD src1_sel:BYTE_1
	v_lshlrev_b16 v52, 8, v42
	v_and_b32_e32 v42, 0xf00, v42
	v_add_nc_u16 v51, 0xf800, v51
	v_add_nc_u16 v52, 0xf800, v52
	v_or_b32_sdwa v42, v42, v52 dst_sel:DWORD dst_unused:UNUSED_PAD src0_sel:DWORD src1_sel:BYTE_1
	v_lshrrev_b32_e32 v52, 8, v51
	v_cvt_f16_i16_sdwa v51, sext(v51) dst_sel:DWORD dst_unused:UNUSED_PAD src0_sel:BYTE_0
	v_add_nc_u16 v42, 0xf800, v42
	v_cvt_f16_i16_sdwa v52, sext(v52) dst_sel:DWORD dst_unused:UNUSED_PAD src0_sel:BYTE_0
	v_pack_b32_f16 v51, v51, v52
	v_lshrrev_b32_e32 v52, 8, v42
	v_cvt_f16_i16_sdwa v42, sext(v42) dst_sel:DWORD dst_unused:UNUSED_PAD src0_sel:BYTE_0
	v_pk_mul_f16 v123, v51, v50
	v_cvt_f16_i16_sdwa v52, sext(v52) dst_sel:DWORD dst_unused:UNUSED_PAD src0_sel:BYTE_0
	v_pk_fma_f16 v51, v38, v43, v35
	v_pack_b32_f16 v42, v42, v52
	v_pk_fma_f16 v52, v123, v43, v36
	v_pk_mul_f16 v42, v42, v50
	v_pk_fma_f16 v50, v122, v43, v34
	v_pk_fma_f16 v53, v42, v43, v37
	v_mul_u32_u24_sdwa v37, v39, v208 dst_sel:DWORD dst_unused:UNUSED_PAD src0_sel:WORD_1 src1_sel:DWORD
	ds_write_b128 v127, v[50:53]
	v_pk_fma_f16 v35, v38, v37, v47
	v_add_co_u32 v38, vcc_lo, v4, s2
	v_add_co_ci_u32_e64 v39, null, 0, v147, vcc_lo
	v_pk_fma_f16 v34, v122, v37, v46
	v_pk_fma_f16 v36, v123, v37, v48
	;; [unrolled: 1-line block ×3, first 2 shown]
	global_load_dword v42, v[38:39], off
	v_add_co_u32 v38, vcc_lo, v5, s2
	v_add_co_ci_u32_e64 v39, null, 0, v231, vcc_lo
	ds_write_b128 v127, v[34:37] offset:16
	global_load_ushort v43, v[38:39], off
	v_add_co_u32 v38, vcc_lo, v119, s2
	v_add_co_ci_u32_e64 v39, null, 0, v219, vcc_lo
	v_mov_b32_e32 v119, v163
	global_load_dword v46, v[38:39], off
	v_add_co_u32 v38, vcc_lo, v6, s2
	v_add_co_ci_u32_e64 v39, null, 0, v3, vcc_lo
	global_load_ushort v38, v[38:39], off
	s_waitcnt vmcnt(3)
	v_ashrrev_i32_e32 v39, v1, v42
	v_and_b32_e32 v39, 0xf0f0f0f, v39
	s_waitcnt vmcnt(2)
	v_mul_u32_u24_e32 v43, 0x10001, v43
	v_lshlrev_b16 v42, 8, v39
	v_and_b32_e32 v47, 0xf00, v39
	v_lshrrev_b32_e32 v39, 16, v39
	v_add_nc_u16 v42, 0xf800, v42
	v_or_b32_sdwa v42, v47, v42 dst_sel:DWORD dst_unused:UNUSED_PAD src0_sel:DWORD src1_sel:BYTE_1
	v_lshlrev_b16 v47, 8, v39
	v_and_b32_e32 v39, 0xf00, v39
	s_waitcnt vmcnt(0)
	v_mul_u32_u24_e32 v38, 0x10001, v38
	v_add_nc_u16 v42, 0xf800, v42
	v_add_nc_u16 v47, 0xf800, v47
	v_or_b32_sdwa v39, v39, v47 dst_sel:DWORD dst_unused:UNUSED_PAD src0_sel:DWORD src1_sel:BYTE_1
	v_lshrrev_b32_e32 v47, 8, v42
	v_cvt_f16_i16_sdwa v42, sext(v42) dst_sel:DWORD dst_unused:UNUSED_PAD src0_sel:BYTE_0
	v_add_nc_u16 v39, 0xf800, v39
	v_cvt_f16_i16_sdwa v47, sext(v47) dst_sel:DWORD dst_unused:UNUSED_PAD src0_sel:BYTE_0
	v_pack_b32_f16 v42, v42, v47
	v_lshrrev_b32_e32 v47, 8, v39
	v_cvt_f16_i16_sdwa v39, sext(v39) dst_sel:DWORD dst_unused:UNUSED_PAD src0_sel:BYTE_0
	v_pk_mul_f16 v42, v42, v43
	v_cvt_f16_i16_sdwa v47, sext(v47) dst_sel:DWORD dst_unused:UNUSED_PAD src0_sel:BYTE_0
	v_pack_b32_f16 v39, v39, v47
	v_pk_mul_f16 v39, v39, v43
	v_ashrrev_i32_e32 v43, v1, v46
	v_and_b32_e32 v43, 0xf0f0f0f, v43
	v_lshlrev_b16 v46, 8, v43
	v_and_b32_e32 v47, 0xf00, v43
	v_lshrrev_b32_e32 v43, 16, v43
	v_add_nc_u16 v46, 0xf800, v46
	v_or_b32_sdwa v46, v47, v46 dst_sel:DWORD dst_unused:UNUSED_PAD src0_sel:DWORD src1_sel:BYTE_1
	v_lshlrev_b16 v47, 8, v43
	v_and_b32_e32 v43, 0xf00, v43
	v_add_nc_u16 v46, 0xf800, v46
	v_add_nc_u16 v47, 0xf800, v47
	v_or_b32_sdwa v43, v43, v47 dst_sel:DWORD dst_unused:UNUSED_PAD src0_sel:DWORD src1_sel:BYTE_1
	v_lshrrev_b32_e32 v47, 8, v46
	v_cvt_f16_i16_sdwa v46, sext(v46) dst_sel:DWORD dst_unused:UNUSED_PAD src0_sel:BYTE_0
	v_add_nc_u16 v43, 0xf800, v43
	v_cvt_f16_i16_sdwa v47, sext(v47) dst_sel:DWORD dst_unused:UNUSED_PAD src0_sel:BYTE_0
	v_pack_b32_f16 v46, v46, v47
	v_lshrrev_b32_e32 v47, 8, v43
	v_cvt_f16_i16_sdwa v43, sext(v43) dst_sel:DWORD dst_unused:UNUSED_PAD src0_sel:BYTE_0
	v_pk_mul_f16 v122, v46, v38
	v_cvt_f16_i16_sdwa v47, sext(v47) dst_sel:DWORD dst_unused:UNUSED_PAD src0_sel:BYTE_0
	v_pack_b32_f16 v43, v43, v47
	v_pk_mul_f16 v38, v43, v38
	v_mul_u32_u24_sdwa v43, v44, v208 dst_sel:DWORD dst_unused:UNUSED_PAD src0_sel:WORD_0 src1_sel:DWORD
	v_pk_fma_f16 v46, v42, v43, v50
	v_pk_fma_f16 v47, v39, v43, v51
	;; [unrolled: 1-line block ×4, first 2 shown]
	v_mul_u32_u24_sdwa v43, v40, v208 dst_sel:DWORD dst_unused:UNUSED_PAD src0_sel:WORD_0 src1_sel:DWORD
	v_mul_u32_u24_sdwa v40, v40, v208 dst_sel:DWORD dst_unused:UNUSED_PAD src0_sel:WORD_1 src1_sel:DWORD
	ds_write_b128 v127, v[46:49]
	v_pk_fma_f16 v50, v42, v43, v34
	v_add_co_u32 v34, vcc_lo, v236, s2
	v_pk_fma_f16 v51, v39, v43, v35
	v_add_co_ci_u32_e64 v35, null, 0, v133, vcc_lo
	v_pk_fma_f16 v52, v122, v43, v36
	v_pk_fma_f16 v53, v38, v43, v37
	global_load_dword v36, v[34:35], off
	v_add_co_u32 v34, vcc_lo, v158, s2
	v_add_co_ci_u32_e64 v35, null, 0, v166, vcc_lo
	ds_write_b128 v127, v[50:53] offset:16
	v_mov_b32_e32 v158, v188
	global_load_ushort v37, v[34:35], off
	v_add_co_u32 v34, vcc_lo, v114, s2
	v_add_co_ci_u32_e64 v35, null, 0, v182, vcc_lo
	global_load_dword v38, v[34:35], off
	v_add_co_u32 v34, vcc_lo, v104, s2
	v_add_co_ci_u32_e64 v35, null, 0, v108, vcc_lo
	v_mov_b32_e32 v108, v149
	v_mov_b32_e32 v104, v203
	;; [unrolled: 1-line block ×3, first 2 shown]
	global_load_ushort v34, v[34:35], off
	s_waitcnt vmcnt(3)
	v_ashrrev_i32_e32 v35, v1, v36
	v_and_b32_e32 v35, 0xf0f0f0f, v35
	s_waitcnt vmcnt(2)
	v_mul_u32_u24_e32 v37, 0x10001, v37
	v_lshlrev_b16 v36, 8, v35
	v_and_b32_e32 v39, 0xf00, v35
	v_lshrrev_b32_e32 v35, 16, v35
	v_add_nc_u16 v36, 0xf800, v36
	v_or_b32_sdwa v36, v39, v36 dst_sel:DWORD dst_unused:UNUSED_PAD src0_sel:DWORD src1_sel:BYTE_1
	v_lshlrev_b16 v39, 8, v35
	v_and_b32_e32 v35, 0xf00, v35
	s_waitcnt vmcnt(0)
	v_mul_u32_u24_e32 v34, 0x10001, v34
	v_add_nc_u16 v36, 0xf800, v36
	v_add_nc_u16 v39, 0xf800, v39
	v_or_b32_sdwa v35, v35, v39 dst_sel:DWORD dst_unused:UNUSED_PAD src0_sel:DWORD src1_sel:BYTE_1
	v_lshrrev_b32_e32 v39, 8, v36
	v_cvt_f16_i16_sdwa v36, sext(v36) dst_sel:DWORD dst_unused:UNUSED_PAD src0_sel:BYTE_0
	v_add_nc_u16 v35, 0xf800, v35
	v_cvt_f16_i16_sdwa v39, sext(v39) dst_sel:DWORD dst_unused:UNUSED_PAD src0_sel:BYTE_0
	v_pack_b32_f16 v36, v36, v39
	v_lshrrev_b32_e32 v39, 8, v35
	v_cvt_f16_i16_sdwa v35, sext(v35) dst_sel:DWORD dst_unused:UNUSED_PAD src0_sel:BYTE_0
	v_cvt_f16_i16_sdwa v39, sext(v39) dst_sel:DWORD dst_unused:UNUSED_PAD src0_sel:BYTE_0
	v_pack_b32_f16 v35, v35, v39
	v_pk_mul_f16 v39, v36, v37
	v_pk_mul_f16 v42, v35, v37
	v_ashrrev_i32_e32 v35, v1, v38
	v_and_b32_e32 v35, 0xf0f0f0f, v35
	v_lshlrev_b16 v36, 8, v35
	v_and_b32_e32 v37, 0xf00, v35
	v_lshrrev_b32_e32 v35, 16, v35
	v_add_nc_u16 v36, 0xf800, v36
	v_or_b32_sdwa v36, v37, v36 dst_sel:DWORD dst_unused:UNUSED_PAD src0_sel:DWORD src1_sel:BYTE_1
	v_lshlrev_b16 v37, 8, v35
	v_and_b32_e32 v35, 0xf00, v35
	v_add_nc_u16 v36, 0xf800, v36
	v_add_nc_u16 v37, 0xf800, v37
	v_or_b32_sdwa v35, v35, v37 dst_sel:DWORD dst_unused:UNUSED_PAD src0_sel:DWORD src1_sel:BYTE_1
	v_lshrrev_b32_e32 v37, 8, v36
	v_cvt_f16_i16_sdwa v36, sext(v36) dst_sel:DWORD dst_unused:UNUSED_PAD src0_sel:BYTE_0
	v_add_nc_u16 v35, 0xf800, v35
	v_cvt_f16_i16_sdwa v37, sext(v37) dst_sel:DWORD dst_unused:UNUSED_PAD src0_sel:BYTE_0
	v_pack_b32_f16 v36, v36, v37
	v_lshrrev_b32_e32 v37, 8, v35
	v_cvt_f16_i16_sdwa v35, sext(v35) dst_sel:DWORD dst_unused:UNUSED_PAD src0_sel:BYTE_0
	v_pk_mul_f16 v38, v36, v34
	v_cvt_f16_i16_sdwa v37, sext(v37) dst_sel:DWORD dst_unused:UNUSED_PAD src0_sel:BYTE_0
	v_pack_b32_f16 v35, v35, v37
	v_mul_u32_u24_sdwa v37, v44, v208 dst_sel:DWORD dst_unused:UNUSED_PAD src0_sel:WORD_1 src1_sel:DWORD
	v_pk_mul_f16 v43, v35, v34
	v_pk_fma_f16 v36, v38, v37, v48
	v_pk_fma_f16 v48, v38, v40, v52
	v_add_co_u32 v38, vcc_lo, v237, s2
	v_pk_fma_f16 v34, v39, v37, v46
	v_pk_fma_f16 v46, v39, v40, v50
	v_add_co_ci_u32_e64 v39, null, 0, v232, vcc_lo
	v_pk_fma_f16 v35, v42, v37, v47
	v_pk_fma_f16 v37, v43, v37, v49
	;; [unrolled: 1-line block ×4, first 2 shown]
	global_load_dword v40, v[38:39], off
	v_add_co_u32 v38, vcc_lo, v197, s2
	v_add_co_ci_u32_e64 v39, null, 0, v177, vcc_lo
	ds_write_b128 v127, v[34:37]
	ds_write_b128 v127, v[46:49] offset:16
	global_load_ushort v42, v[38:39], off
	v_add_co_u32 v38, vcc_lo, v118, s2
	v_add_co_ci_u32_e64 v39, null, 0, v175, vcc_lo
	global_load_dword v43, v[38:39], off
	v_add_co_u32 v38, vcc_lo, v250, s2
	v_add_co_ci_u32_e64 v39, null, 0, v245, vcc_lo
	global_load_ushort v38, v[38:39], off
	s_waitcnt vmcnt(3)
	v_ashrrev_i32_e32 v39, v1, v40
	v_and_b32_e32 v39, 0xf0f0f0f, v39
	s_waitcnt vmcnt(2)
	v_mul_u32_u24_e32 v42, 0x10001, v42
	v_lshlrev_b16 v40, 8, v39
	v_and_b32_e32 v44, 0xf00, v39
	v_lshrrev_b32_e32 v39, 16, v39
	v_add_nc_u16 v40, 0xf800, v40
	v_or_b32_sdwa v40, v44, v40 dst_sel:DWORD dst_unused:UNUSED_PAD src0_sel:DWORD src1_sel:BYTE_1
	v_lshlrev_b16 v44, 8, v39
	v_and_b32_e32 v39, 0xf00, v39
	s_waitcnt vmcnt(0)
	v_mul_u32_u24_e32 v38, 0x10001, v38
	v_add_nc_u16 v40, 0xf800, v40
	v_add_nc_u16 v44, 0xf800, v44
	v_or_b32_sdwa v39, v39, v44 dst_sel:DWORD dst_unused:UNUSED_PAD src0_sel:DWORD src1_sel:BYTE_1
	v_lshrrev_b32_e32 v44, 8, v40
	v_cvt_f16_i16_sdwa v40, sext(v40) dst_sel:DWORD dst_unused:UNUSED_PAD src0_sel:BYTE_0
	v_add_nc_u16 v39, 0xf800, v39
	v_cvt_f16_i16_sdwa v44, sext(v44) dst_sel:DWORD dst_unused:UNUSED_PAD src0_sel:BYTE_0
	v_pack_b32_f16 v40, v40, v44
	v_lshrrev_b32_e32 v44, 8, v39
	v_cvt_f16_i16_sdwa v39, sext(v39) dst_sel:DWORD dst_unused:UNUSED_PAD src0_sel:BYTE_0
	v_pk_mul_f16 v40, v40, v42
	v_cvt_f16_i16_sdwa v44, sext(v44) dst_sel:DWORD dst_unused:UNUSED_PAD src0_sel:BYTE_0
	v_pack_b32_f16 v39, v39, v44
	v_pk_mul_f16 v39, v39, v42
	v_ashrrev_i32_e32 v42, v1, v43
	v_and_b32_e32 v42, 0xf0f0f0f, v42
	v_lshlrev_b16 v43, 8, v42
	v_and_b32_e32 v44, 0xf00, v42
	v_lshrrev_b32_e32 v42, 16, v42
	v_add_nc_u16 v43, 0xf800, v43
	v_or_b32_sdwa v43, v44, v43 dst_sel:DWORD dst_unused:UNUSED_PAD src0_sel:DWORD src1_sel:BYTE_1
	v_lshlrev_b16 v44, 8, v42
	v_and_b32_e32 v42, 0xf00, v42
	v_add_nc_u16 v43, 0xf800, v43
	v_add_nc_u16 v44, 0xf800, v44
	v_or_b32_sdwa v42, v42, v44 dst_sel:DWORD dst_unused:UNUSED_PAD src0_sel:DWORD src1_sel:BYTE_1
	v_lshrrev_b32_e32 v44, 8, v43
	v_cvt_f16_i16_sdwa v43, sext(v43) dst_sel:DWORD dst_unused:UNUSED_PAD src0_sel:BYTE_0
	v_add_nc_u16 v42, 0xf800, v42
	v_cvt_f16_i16_sdwa v44, sext(v44) dst_sel:DWORD dst_unused:UNUSED_PAD src0_sel:BYTE_0
	v_pack_b32_f16 v43, v43, v44
	v_lshrrev_b32_e32 v44, 8, v42
	v_cvt_f16_i16_sdwa v42, sext(v42) dst_sel:DWORD dst_unused:UNUSED_PAD src0_sel:BYTE_0
	v_pk_mul_f16 v43, v43, v38
	v_cvt_f16_i16_sdwa v44, sext(v44) dst_sel:DWORD dst_unused:UNUSED_PAD src0_sel:BYTE_0
	v_pack_b32_f16 v42, v42, v44
	v_pk_mul_f16 v38, v42, v38
	v_mul_u32_u24_sdwa v42, v45, v208 dst_sel:DWORD dst_unused:UNUSED_PAD src0_sel:WORD_0 src1_sel:DWORD
	v_pk_fma_f16 v212, v38, v42, v37
	v_mul_u32_u24_sdwa v37, v41, v208 dst_sel:DWORD dst_unused:UNUSED_PAD src0_sel:WORD_0 src1_sel:DWORD
	v_pk_fma_f16 v209, v40, v42, v34
	v_pk_fma_f16 v210, v39, v42, v35
	;; [unrolled: 1-line block ×7, first 2 shown]
	v_add_co_u32 v38, vcc_lo, v173, s2
	v_add_co_ci_u32_e64 v39, null, 0, v172, vcc_lo
	v_mul_u32_u24_sdwa v40, v45, v208 dst_sel:DWORD dst_unused:UNUSED_PAD src0_sel:WORD_1 src1_sel:DWORD
	ds_write_b128 v127, v[34:37] offset:16
	ds_write_b128 v127, v[209:212]
	global_load_dword v42, v[38:39], off
	v_add_co_u32 v38, vcc_lo, v176, s2
	v_add_co_ci_u32_e64 v39, null, 0, v181, vcc_lo
	global_load_ushort v43, v[38:39], off
	v_add_co_u32 v38, vcc_lo, v243, s2
	v_add_co_ci_u32_e64 v39, null, 0, v234, vcc_lo
	global_load_dword v44, v[38:39], off
	v_add_co_u32 v38, vcc_lo, v217, s2
	v_add_co_ci_u32_e64 v39, null, 0, v179, vcc_lo
	global_load_ushort v38, v[38:39], off
	s_waitcnt vmcnt(3)
	v_ashrrev_i32_e32 v39, v1, v42
	v_and_b32_e32 v39, 0xf0f0f0f, v39
	s_waitcnt vmcnt(2)
	v_mul_u32_u24_e32 v43, 0x10001, v43
	v_lshlrev_b16 v42, 8, v39
	v_and_b32_e32 v45, 0xf00, v39
	v_lshrrev_b32_e32 v39, 16, v39
	v_add_nc_u16 v42, 0xf800, v42
	v_or_b32_sdwa v42, v45, v42 dst_sel:DWORD dst_unused:UNUSED_PAD src0_sel:DWORD src1_sel:BYTE_1
	v_lshlrev_b16 v45, 8, v39
	v_and_b32_e32 v39, 0xf00, v39
	s_waitcnt vmcnt(0)
	v_mul_u32_u24_e32 v38, 0x10001, v38
	v_add_nc_u16 v42, 0xf800, v42
	v_add_nc_u16 v45, 0xf800, v45
	v_or_b32_sdwa v39, v39, v45 dst_sel:DWORD dst_unused:UNUSED_PAD src0_sel:DWORD src1_sel:BYTE_1
	v_lshrrev_b32_e32 v45, 8, v42
	v_cvt_f16_i16_sdwa v42, sext(v42) dst_sel:DWORD dst_unused:UNUSED_PAD src0_sel:BYTE_0
	v_add_nc_u16 v39, 0xf800, v39
	v_cvt_f16_i16_sdwa v45, sext(v45) dst_sel:DWORD dst_unused:UNUSED_PAD src0_sel:BYTE_0
	v_pack_b32_f16 v42, v42, v45
	v_lshrrev_b32_e32 v45, 8, v39
	v_cvt_f16_i16_sdwa v39, sext(v39) dst_sel:DWORD dst_unused:UNUSED_PAD src0_sel:BYTE_0
	v_pk_mul_f16 v42, v42, v43
	v_cvt_f16_i16_sdwa v45, sext(v45) dst_sel:DWORD dst_unused:UNUSED_PAD src0_sel:BYTE_0
	v_pk_fma_f16 v50, v42, v40, v209
	v_pack_b32_f16 v39, v39, v45
	v_pk_mul_f16 v39, v39, v43
	v_ashrrev_i32_e32 v43, v1, v44
	v_pk_fma_f16 v51, v39, v40, v210
	v_and_b32_e32 v43, 0xf0f0f0f, v43
	v_lshlrev_b16 v44, 8, v43
	v_and_b32_e32 v45, 0xf00, v43
	v_lshrrev_b32_e32 v43, 16, v43
	v_add_nc_u16 v44, 0xf800, v44
	v_or_b32_sdwa v44, v45, v44 dst_sel:DWORD dst_unused:UNUSED_PAD src0_sel:DWORD src1_sel:BYTE_1
	v_lshlrev_b16 v45, 8, v43
	v_and_b32_e32 v43, 0xf00, v43
	v_add_nc_u16 v44, 0xf800, v44
	v_add_nc_u16 v45, 0xf800, v45
	v_or_b32_sdwa v43, v43, v45 dst_sel:DWORD dst_unused:UNUSED_PAD src0_sel:DWORD src1_sel:BYTE_1
	v_lshrrev_b32_e32 v45, 8, v44
	v_cvt_f16_i16_sdwa v44, sext(v44) dst_sel:DWORD dst_unused:UNUSED_PAD src0_sel:BYTE_0
	v_add_nc_u16 v43, 0xf800, v43
	v_cvt_f16_i16_sdwa v45, sext(v45) dst_sel:DWORD dst_unused:UNUSED_PAD src0_sel:BYTE_0
	v_pack_b32_f16 v44, v44, v45
	v_lshrrev_b32_e32 v45, 8, v43
	v_cvt_f16_i16_sdwa v43, sext(v43) dst_sel:DWORD dst_unused:UNUSED_PAD src0_sel:BYTE_0
	v_pk_mul_f16 v44, v44, v38
	v_cvt_f16_i16_sdwa v45, sext(v45) dst_sel:DWORD dst_unused:UNUSED_PAD src0_sel:BYTE_0
	v_pk_fma_f16 v52, v44, v40, v211
	v_pack_b32_f16 v43, v43, v45
	v_pk_mul_f16 v38, v43, v38
	v_pk_fma_f16 v53, v38, v40, v212
	v_mul_u32_u24_sdwa v40, v41, v208 dst_sel:DWORD dst_unused:UNUSED_PAD src0_sel:WORD_1 src1_sel:DWORD
	v_pk_fma_f16 v46, v42, v40, v34
	v_add_co_u32 v34, vcc_lo, v204, s2
	v_pk_fma_f16 v47, v39, v40, v35
	v_add_co_ci_u32_e64 v35, null, 0, v79, vcc_lo
	v_pk_fma_f16 v48, v44, v40, v36
	v_pk_fma_f16 v49, v38, v40, v37
	global_load_dword v36, v[34:35], off
	v_add_co_u32 v34, vcc_lo, v222, s2
	v_add_co_ci_u32_e64 v35, null, 0, v132, vcc_lo
	global_load_ushort v37, v[34:35], off
	v_add_co_u32 v34, vcc_lo, v61, s2
	v_add_co_ci_u32_e64 v35, null, 0, v72, vcc_lo
	v_mov_b32_e32 v72, v204
	v_mov_b32_e32 v204, v61
	;; [unrolled: 1-line block ×3, first 2 shown]
	global_load_dword v38, v[34:35], off
	v_add_co_u32 v34, vcc_lo, v205, s2
	v_add_co_ci_u32_e64 v35, null, 0, v206, vcc_lo
	v_mov_b32_e32 v64, v68
	v_mov_b32_e32 v60, v61
	v_mov_b32_e32 v61, v62
	global_load_ushort v34, v[34:35], off
	v_mov_b32_e32 v62, v63
	v_mov_b32_e32 v63, v64
	;; [unrolled: 1-line block ×4, first 2 shown]
	s_waitcnt vmcnt(3)
	v_ashrrev_i32_e32 v35, v1, v36
	v_and_b32_e32 v35, 0xf0f0f0f, v35
	s_waitcnt vmcnt(2)
	v_mul_u32_u24_e32 v37, 0x10001, v37
	v_lshlrev_b16 v36, 8, v35
	v_and_b32_e32 v39, 0xf00, v35
	v_lshrrev_b32_e32 v35, 16, v35
	v_add_nc_u16 v36, 0xf800, v36
	v_or_b32_sdwa v36, v39, v36 dst_sel:DWORD dst_unused:UNUSED_PAD src0_sel:DWORD src1_sel:BYTE_1
	v_lshlrev_b16 v39, 8, v35
	v_and_b32_e32 v35, 0xf00, v35
	s_waitcnt vmcnt(0)
	v_mul_u32_u24_e32 v34, 0x10001, v34
	v_add_nc_u16 v36, 0xf800, v36
	v_add_nc_u16 v39, 0xf800, v39
	v_or_b32_sdwa v35, v35, v39 dst_sel:DWORD dst_unused:UNUSED_PAD src0_sel:DWORD src1_sel:BYTE_1
	v_lshrrev_b32_e32 v39, 8, v36
	v_cvt_f16_i16_sdwa v36, sext(v36) dst_sel:DWORD dst_unused:UNUSED_PAD src0_sel:BYTE_0
	v_add_nc_u16 v35, 0xf800, v35
	v_cvt_f16_i16_sdwa v39, sext(v39) dst_sel:DWORD dst_unused:UNUSED_PAD src0_sel:BYTE_0
	v_pack_b32_f16 v36, v36, v39
	v_lshrrev_b32_e32 v39, 8, v35
	v_cvt_f16_i16_sdwa v35, sext(v35) dst_sel:DWORD dst_unused:UNUSED_PAD src0_sel:BYTE_0
	v_pk_mul_f16 v209, v36, v37
	v_cvt_f16_i16_sdwa v39, sext(v39) dst_sel:DWORD dst_unused:UNUSED_PAD src0_sel:BYTE_0
	v_pack_b32_f16 v35, v35, v39
	v_pk_mul_f16 v210, v35, v37
	v_ashrrev_i32_e32 v35, v1, v38
	v_and_b32_e32 v35, 0xf0f0f0f, v35
	v_lshlrev_b16 v36, 8, v35
	v_and_b32_e32 v37, 0xf00, v35
	v_lshrrev_b32_e32 v35, 16, v35
	v_add_nc_u16 v36, 0xf800, v36
	v_or_b32_sdwa v36, v37, v36 dst_sel:DWORD dst_unused:UNUSED_PAD src0_sel:DWORD src1_sel:BYTE_1
	v_lshlrev_b16 v37, 8, v35
	v_and_b32_e32 v35, 0xf00, v35
	v_add_nc_u16 v36, 0xf800, v36
	v_add_nc_u16 v37, 0xf800, v37
	v_or_b32_sdwa v35, v35, v37 dst_sel:DWORD dst_unused:UNUSED_PAD src0_sel:DWORD src1_sel:BYTE_1
	v_lshrrev_b32_e32 v37, 8, v36
	v_cvt_f16_i16_sdwa v36, sext(v36) dst_sel:DWORD dst_unused:UNUSED_PAD src0_sel:BYTE_0
	v_add_nc_u16 v35, 0xf800, v35
	v_cvt_f16_i16_sdwa v37, sext(v37) dst_sel:DWORD dst_unused:UNUSED_PAD src0_sel:BYTE_0
	v_pack_b32_f16 v36, v36, v37
	v_lshrrev_b32_e32 v37, 8, v35
	v_cvt_f16_i16_sdwa v35, sext(v35) dst_sel:DWORD dst_unused:UNUSED_PAD src0_sel:BYTE_0
	v_pk_mul_f16 v211, v36, v34
	v_cvt_f16_i16_sdwa v37, sext(v37) dst_sel:DWORD dst_unused:UNUSED_PAD src0_sel:BYTE_0
	v_pack_b32_f16 v35, v35, v37
	v_pk_mul_f16 v212, v35, v34
	ds_read_b128 v[34:37], v0 offset:32
	ds_read_b128 v[42:45], v0 offset:48
	ds_write_b128 v127, v[50:53]
	s_waitcnt lgkmcnt(2)
	v_mul_u32_u24_sdwa v38, v34, v208 dst_sel:DWORD dst_unused:UNUSED_PAD src0_sel:WORD_0 src1_sel:DWORD
	v_mul_u32_u24_sdwa v34, v34, v208 dst_sel:DWORD dst_unused:UNUSED_PAD src0_sel:WORD_1 src1_sel:DWORD
	v_pk_fma_f16 v213, v209, v38, v50
	v_pk_fma_f16 v214, v210, v38, v51
	;; [unrolled: 1-line block ×4, first 2 shown]
	ds_read_b128 v[50:53], v0 offset:288
	ds_read_b128 v[38:41], v0 offset:304
	s_clause 0x6
	buffer_load_dword v3, off, s[96:99], 0 offset:852
	buffer_load_dword v248, off, s[96:99], 0 offset:56
	;; [unrolled: 1-line block ×6, first 2 shown]
	buffer_load_dword v129, off, s[96:99], 0
	ds_write_b128 v127, v[46:49] offset:16
	s_clause 0xe
	buffer_load_dword v5, off, s[96:99], 0 offset:1000
	buffer_load_dword v182, off, s[96:99], 0 offset:996
	;; [unrolled: 1-line block ×15, first 2 shown]
	s_waitcnt lgkmcnt(2)
	v_mul_u32_u24_sdwa v122, v50, v208 dst_sel:DWORD dst_unused:UNUSED_PAD src0_sel:WORD_0 src1_sel:DWORD
	s_clause 0x5
	buffer_load_dword v253, off, s[96:99], 0 offset:1040
	buffer_load_dword v2, off, s[96:99], 0 offset:1044
	;; [unrolled: 1-line block ×6, first 2 shown]
	v_pk_fma_f16 v209, v209, v122, v46
	v_add_co_u32 v46, vcc_lo, v200, s2
	v_pk_fma_f16 v210, v210, v122, v47
	v_add_co_ci_u32_e64 v47, null, 0, v136, vcc_lo
	v_pk_fma_f16 v211, v211, v122, v48
	v_pk_fma_f16 v212, v212, v122, v49
	ds_write_b128 v127, v[213:216]
	global_load_dword v48, v[46:47], off
	s_clause 0x4
	buffer_load_dword v106, off, s[96:99], 0 offset:932
	buffer_load_dword v175, off, s[96:99], 0 offset:988
	;; [unrolled: 1-line block ×5, first 2 shown]
	ds_write_b128 v127, v[209:212] offset:16
	s_clause 0x9
	buffer_load_dword v235, off, s[96:99], 0 offset:1020
	buffer_load_dword v242, off, s[96:99], 0 offset:1032
	;; [unrolled: 1-line block ×10, first 2 shown]
	s_waitcnt vmcnt(43)
	v_add_co_u32 v46, vcc_lo, v3, s2
	v_add_co_ci_u32_e64 v47, null, 0, v180, vcc_lo
	s_waitcnt vmcnt(39)
	v_mov_b32_e32 v8, v247
	v_mov_b32_e32 v12, v249
	;; [unrolled: 1-line block ×3, first 2 shown]
	global_load_ushort v49, v[46:47], off
	v_add_co_u32 v46, vcc_lo, v187, s2
	v_add_co_ci_u32_e64 v47, null, 0, v194, vcc_lo
	global_load_dword v122, v[46:47], off
	v_add_co_u32 v46, vcc_lo, v195, s2
	v_add_co_ci_u32_e64 v47, null, 0, v77, vcc_lo
	buffer_load_dword v77, off, s[96:99], 0 offset:1056 ; 4-byte Folded Reload
	s_waitcnt vmcnt(32)
	v_mov_b32_e32 v192, v0
	buffer_load_dword v195, off, s[96:99], 0 offset:944 ; 4-byte Folded Reload
	global_load_ushort v46, v[46:47], off
	s_waitcnt vmcnt(25)
	v_mov_b32_e32 v184, v2
	s_waitcnt vmcnt(20)
	v_ashrrev_i32_e32 v47, v1, v48
	v_and_b32_e32 v47, 0xf0f0f0f, v47
	v_lshlrev_b16 v48, 8, v47
	v_and_b32_e32 v123, 0xf00, v47
	v_lshrrev_b32_e32 v47, 16, v47
	v_add_nc_u16 v48, 0xf800, v48
	v_or_b32_sdwa v48, v123, v48 dst_sel:DWORD dst_unused:UNUSED_PAD src0_sel:DWORD src1_sel:BYTE_1
	v_lshlrev_b16 v123, 8, v47
	v_and_b32_e32 v47, 0xf00, v47
	v_add_nc_u16 v48, 0xf800, v48
	v_add_nc_u16 v123, 0xf800, v123
	v_or_b32_sdwa v47, v47, v123 dst_sel:DWORD dst_unused:UNUSED_PAD src0_sel:DWORD src1_sel:BYTE_1
	v_lshrrev_b32_e32 v123, 8, v48
	v_cvt_f16_i16_sdwa v48, sext(v48) dst_sel:DWORD dst_unused:UNUSED_PAD src0_sel:BYTE_0
	v_add_nc_u16 v47, 0xf800, v47
	v_cvt_f16_i16_sdwa v123, sext(v123) dst_sel:DWORD dst_unused:UNUSED_PAD src0_sel:BYTE_0
	v_pack_b32_f16 v48, v48, v123
	v_lshrrev_b32_e32 v123, 8, v47
	v_cvt_f16_i16_sdwa v47, sext(v47) dst_sel:DWORD dst_unused:UNUSED_PAD src0_sel:BYTE_0
	v_cvt_f16_i16_sdwa v123, sext(v123) dst_sel:DWORD dst_unused:UNUSED_PAD src0_sel:BYTE_0
	v_pack_b32_f16 v47, v47, v123
	s_waitcnt vmcnt(4)
	v_mul_u32_u24_e32 v49, 0x10001, v49
	v_pk_mul_f16 v124, v47, v49
	v_pk_mul_f16 v123, v48, v49
	s_waitcnt vmcnt(3)
	v_ashrrev_i32_e32 v47, v1, v122
	v_and_b32_e32 v47, 0xf0f0f0f, v47
	s_waitcnt vmcnt(0)
	v_mul_u32_u24_e32 v46, 0x10001, v46
	v_lshlrev_b16 v48, 8, v47
	v_and_b32_e32 v49, 0xf00, v47
	v_lshrrev_b32_e32 v47, 16, v47
	v_add_nc_u16 v48, 0xf800, v48
	v_or_b32_sdwa v48, v49, v48 dst_sel:DWORD dst_unused:UNUSED_PAD src0_sel:DWORD src1_sel:BYTE_1
	v_lshlrev_b16 v49, 8, v47
	v_and_b32_e32 v47, 0xf00, v47
	v_add_nc_u16 v48, 0xf800, v48
	v_add_nc_u16 v49, 0xf800, v49
	v_or_b32_sdwa v47, v47, v49 dst_sel:DWORD dst_unused:UNUSED_PAD src0_sel:DWORD src1_sel:BYTE_1
	v_lshrrev_b32_e32 v49, 8, v48
	v_cvt_f16_i16_sdwa v48, sext(v48) dst_sel:DWORD dst_unused:UNUSED_PAD src0_sel:BYTE_0
	v_add_nc_u16 v47, 0xf800, v47
	v_cvt_f16_i16_sdwa v49, sext(v49) dst_sel:DWORD dst_unused:UNUSED_PAD src0_sel:BYTE_0
	v_pack_b32_f16 v48, v48, v49
	v_lshrrev_b32_e32 v49, 8, v47
	v_cvt_f16_i16_sdwa v47, sext(v47) dst_sel:DWORD dst_unused:UNUSED_PAD src0_sel:BYTE_0
	v_pk_mul_f16 v122, v48, v46
	v_cvt_f16_i16_sdwa v49, sext(v49) dst_sel:DWORD dst_unused:UNUSED_PAD src0_sel:BYTE_0
	v_pk_fma_f16 v48, v122, v34, v215
	v_pack_b32_f16 v47, v47, v49
	v_pk_mul_f16 v128, v47, v46
	v_pk_fma_f16 v46, v123, v34, v213
	v_pk_fma_f16 v47, v124, v34, v214
	;; [unrolled: 1-line block ×3, first 2 shown]
	v_mul_u32_u24_sdwa v34, v50, v208 dst_sel:DWORD dst_unused:UNUSED_PAD src0_sel:WORD_1 src1_sel:DWORD
	ds_write_b128 v127, v[46:49]
	v_pk_fma_f16 v213, v123, v34, v209
	v_add_co_u32 v209, vcc_lo, v191, s2
	v_pk_fma_f16 v214, v124, v34, v210
	v_add_co_ci_u32_e64 v210, null, 0, v149, vcc_lo
	v_pk_fma_f16 v215, v122, v34, v211
	v_pk_fma_f16 v216, v128, v34, v212
	v_mov_b32_e32 v149, v96
	global_load_dword v34, v[209:210], off
	v_add_co_u32 v209, vcc_lo, v163, s2
	v_add_co_ci_u32_e64 v210, null, 0, v196, vcc_lo
	v_mov_b32_e32 v96, v88
	buffer_load_dword v88, off, s[96:99], 0 offset:1096 ; 4-byte Folded Reload
	ds_write_b128 v127, v[213:216] offset:16
	global_load_ushort v50, v[209:210], off
	v_add_co_u32 v209, vcc_lo, v188, s2
	v_add_co_ci_u32_e64 v210, null, 0, v5, vcc_lo
	v_mov_b32_e32 v188, v71
	v_mov_b32_e32 v71, v69
	;; [unrolled: 1-line block ×3, first 2 shown]
	global_load_dword v122, v[209:210], off
	v_add_co_u32 v209, vcc_lo, v0, s2
	v_add_co_ci_u32_e64 v210, null, 0, v253, vcc_lo
	buffer_load_dword v0, off, s[96:99], 0 offset:912 ; 4-byte Folded Reload
	v_mov_b32_e32 v66, v188
	v_mov_b32_e32 v188, v158
	global_load_ushort v123, v[209:210], off
	s_waitcnt vmcnt(5)
	v_ashrrev_i32_e32 v34, v1, v34
	v_and_b32_e32 v34, 0xf0f0f0f, v34
	s_waitcnt vmcnt(3)
	v_mul_u32_u24_e32 v50, 0x10001, v50
	v_lshlrev_b16 v124, 8, v34
	v_and_b32_e32 v128, 0xf00, v34
	v_lshrrev_b32_e32 v34, 16, v34
	v_add_nc_u16 v124, 0xf800, v124
	v_or_b32_sdwa v124, v128, v124 dst_sel:DWORD dst_unused:UNUSED_PAD src0_sel:DWORD src1_sel:BYTE_1
	v_lshlrev_b16 v128, 8, v34
	v_and_b32_e32 v34, 0xf00, v34
	s_waitcnt vmcnt(0)
	v_mul_u32_u24_e32 v123, 0x10001, v123
	v_add_nc_u16 v124, 0xf800, v124
	v_add_nc_u16 v128, 0xf800, v128
	v_or_b32_sdwa v34, v34, v128 dst_sel:DWORD dst_unused:UNUSED_PAD src0_sel:DWORD src1_sel:BYTE_1
	v_lshrrev_b32_e32 v128, 8, v124
	v_cvt_f16_i16_sdwa v124, sext(v124) dst_sel:DWORD dst_unused:UNUSED_PAD src0_sel:BYTE_0
	v_add_nc_u16 v34, 0xf800, v34
	v_cvt_f16_i16_sdwa v128, sext(v128) dst_sel:DWORD dst_unused:UNUSED_PAD src0_sel:BYTE_0
	v_pack_b32_f16 v124, v124, v128
	v_lshrrev_b32_e32 v128, 8, v34
	v_cvt_f16_i16_sdwa v34, sext(v34) dst_sel:DWORD dst_unused:UNUSED_PAD src0_sel:BYTE_0
	v_pk_mul_f16 v124, v124, v50
	v_cvt_f16_i16_sdwa v128, sext(v128) dst_sel:DWORD dst_unused:UNUSED_PAD src0_sel:BYTE_0
	v_pack_b32_f16 v34, v34, v128
	v_pk_mul_f16 v34, v34, v50
	v_ashrrev_i32_e32 v50, v1, v122
	v_and_b32_e32 v50, 0xf0f0f0f, v50
	v_lshlrev_b16 v122, 8, v50
	v_and_b32_e32 v128, 0xf00, v50
	v_lshrrev_b32_e32 v50, 16, v50
	v_add_nc_u16 v122, 0xf800, v122
	v_or_b32_sdwa v122, v128, v122 dst_sel:DWORD dst_unused:UNUSED_PAD src0_sel:DWORD src1_sel:BYTE_1
	v_lshlrev_b16 v128, 8, v50
	v_and_b32_e32 v50, 0xf00, v50
	v_add_nc_u16 v122, 0xf800, v122
	v_add_nc_u16 v128, 0xf800, v128
	v_or_b32_sdwa v50, v50, v128 dst_sel:DWORD dst_unused:UNUSED_PAD src0_sel:DWORD src1_sel:BYTE_1
	v_lshrrev_b32_e32 v128, 8, v122
	v_cvt_f16_i16_sdwa v122, sext(v122) dst_sel:DWORD dst_unused:UNUSED_PAD src0_sel:BYTE_0
	v_add_nc_u16 v50, 0xf800, v50
	v_cvt_f16_i16_sdwa v128, sext(v128) dst_sel:DWORD dst_unused:UNUSED_PAD src0_sel:BYTE_0
	v_pack_b32_f16 v122, v122, v128
	v_lshrrev_b32_e32 v128, 8, v50
	v_cvt_f16_i16_sdwa v50, sext(v50) dst_sel:DWORD dst_unused:UNUSED_PAD src0_sel:BYTE_0
	v_pk_mul_f16 v122, v122, v123
	v_cvt_f16_i16_sdwa v128, sext(v128) dst_sel:DWORD dst_unused:UNUSED_PAD src0_sel:BYTE_0
	v_pack_b32_f16 v50, v50, v128
	v_pk_mul_f16 v50, v50, v123
	v_mul_u32_u24_sdwa v123, v35, v208 dst_sel:DWORD dst_unused:UNUSED_PAD src0_sel:WORD_0 src1_sel:DWORD
	v_mul_u32_u24_sdwa v35, v35, v208 dst_sel:DWORD dst_unused:UNUSED_PAD src0_sel:WORD_1 src1_sel:DWORD
	v_pk_fma_f16 v212, v50, v123, v49
	v_mul_u32_u24_sdwa v49, v51, v208 dst_sel:DWORD dst_unused:UNUSED_PAD src0_sel:WORD_0 src1_sel:DWORD
	v_pk_fma_f16 v209, v124, v123, v46
	v_pk_fma_f16 v210, v34, v123, v47
	;; [unrolled: 1-line block ×4, first 2 shown]
	v_add_co_u32 v213, vcc_lo, v2, s2
	v_pk_fma_f16 v47, v34, v49, v214
	v_add_co_ci_u32_e64 v214, null, 0, v138, vcc_lo
	v_pk_fma_f16 v48, v122, v49, v215
	v_pk_fma_f16 v49, v50, v49, v216
	ds_write_b128 v127, v[209:212]
	global_load_dword v34, v[213:214], off
	v_add_co_u32 v213, vcc_lo, v190, s2
	v_add_co_ci_u32_e64 v214, null, 0, v183, vcc_lo
	ds_write_b128 v127, v[46:49] offset:16
	v_mov_b32_e32 v138, v164
	global_load_ushort v50, v[213:214], off
	v_add_co_u32 v213, vcc_lo, v186, s2
	buffer_load_dword v186, off, s[96:99], 0 offset:916 ; 4-byte Folded Reload
	v_add_co_ci_u32_e64 v214, null, 0, v0, vcc_lo
	v_mov_b32_e32 v166, v0
	global_load_dword v122, v[213:214], off
	s_waitcnt vmcnt(3)
	v_ashrrev_i32_e32 v34, v1, v34
	v_and_b32_e32 v34, 0xf0f0f0f, v34
	s_waitcnt vmcnt(2)
	v_mul_u32_u24_e32 v50, 0x10001, v50
	v_lshlrev_b16 v124, 8, v34
	s_waitcnt vmcnt(1)
	v_add_co_u32 v213, vcc_lo, v186, s2
	v_add_co_ci_u32_e64 v214, null, 0, v159, vcc_lo
	v_add_nc_u16 v124, 0xf800, v124
	v_and_b32_e32 v128, 0xf00, v34
	v_lshrrev_b32_e32 v34, 16, v34
	global_load_ushort v123, v[213:214], off
	v_or_b32_sdwa v124, v128, v124 dst_sel:DWORD dst_unused:UNUSED_PAD src0_sel:DWORD src1_sel:BYTE_1
	v_lshlrev_b16 v128, 8, v34
	v_and_b32_e32 v34, 0xf00, v34
	v_add_nc_u16 v124, 0xf800, v124
	v_add_nc_u16 v128, 0xf800, v128
	v_or_b32_sdwa v34, v34, v128 dst_sel:DWORD dst_unused:UNUSED_PAD src0_sel:DWORD src1_sel:BYTE_1
	v_lshrrev_b32_e32 v128, 8, v124
	v_cvt_f16_i16_sdwa v124, sext(v124) dst_sel:DWORD dst_unused:UNUSED_PAD src0_sel:BYTE_0
	v_add_nc_u16 v34, 0xf800, v34
	v_cvt_f16_i16_sdwa v128, sext(v128) dst_sel:DWORD dst_unused:UNUSED_PAD src0_sel:BYTE_0
	v_pack_b32_f16 v124, v124, v128
	v_lshrrev_b32_e32 v128, 8, v34
	v_cvt_f16_i16_sdwa v34, sext(v34) dst_sel:DWORD dst_unused:UNUSED_PAD src0_sel:BYTE_0
	v_pk_mul_f16 v124, v124, v50
	v_cvt_f16_i16_sdwa v128, sext(v128) dst_sel:DWORD dst_unused:UNUSED_PAD src0_sel:BYTE_0
	v_pk_fma_f16 v213, v124, v35, v209
	v_pack_b32_f16 v34, v34, v128
	v_pk_mul_f16 v34, v34, v50
	s_waitcnt vmcnt(1)
	v_ashrrev_i32_e32 v50, v1, v122
	v_pk_fma_f16 v214, v34, v35, v210
	v_and_b32_e32 v50, 0xf0f0f0f, v50
	v_lshlrev_b16 v122, 8, v50
	v_and_b32_e32 v128, 0xf00, v50
	v_lshrrev_b32_e32 v50, 16, v50
	v_add_nc_u16 v122, 0xf800, v122
	v_or_b32_sdwa v122, v128, v122 dst_sel:DWORD dst_unused:UNUSED_PAD src0_sel:DWORD src1_sel:BYTE_1
	v_lshlrev_b16 v128, 8, v50
	v_and_b32_e32 v50, 0xf00, v50
	v_add_nc_u16 v122, 0xf800, v122
	v_add_nc_u16 v128, 0xf800, v128
	v_or_b32_sdwa v50, v50, v128 dst_sel:DWORD dst_unused:UNUSED_PAD src0_sel:DWORD src1_sel:BYTE_1
	v_lshrrev_b32_e32 v128, 8, v122
	v_cvt_f16_i16_sdwa v122, sext(v122) dst_sel:DWORD dst_unused:UNUSED_PAD src0_sel:BYTE_0
	v_add_nc_u16 v50, 0xf800, v50
	v_cvt_f16_i16_sdwa v128, sext(v128) dst_sel:DWORD dst_unused:UNUSED_PAD src0_sel:BYTE_0
	v_pack_b32_f16 v122, v122, v128
	v_lshrrev_b32_e32 v128, 8, v50
	v_cvt_f16_i16_sdwa v50, sext(v50) dst_sel:DWORD dst_unused:UNUSED_PAD src0_sel:BYTE_0
	v_cvt_f16_i16_sdwa v128, sext(v128) dst_sel:DWORD dst_unused:UNUSED_PAD src0_sel:BYTE_0
	v_pack_b32_f16 v50, v50, v128
	s_waitcnt vmcnt(0)
	v_mul_u32_u24_e32 v123, 0x10001, v123
	v_pk_mul_f16 v122, v122, v123
	v_pk_mul_f16 v50, v50, v123
	v_pk_fma_f16 v215, v122, v35, v211
	v_pk_fma_f16 v216, v50, v35, v212
	v_mul_u32_u24_sdwa v35, v51, v208 dst_sel:DWORD dst_unused:UNUSED_PAD src0_sel:WORD_1 src1_sel:DWORD
	ds_write_b128 v127, v[213:216]
	v_pk_fma_f16 v210, v34, v35, v47
	v_add_co_u32 v34, vcc_lo, v157, s2
	v_pk_fma_f16 v209, v124, v35, v46
	v_pk_fma_f16 v211, v122, v35, v48
	;; [unrolled: 1-line block ×3, first 2 shown]
	v_add_co_ci_u32_e64 v35, null, 0, v156, vcc_lo
	v_mul_u32_u24_sdwa v122, v52, v208 dst_sel:DWORD dst_unused:UNUSED_PAD src0_sel:WORD_0 src1_sel:DWORD
	v_mov_b32_e32 v157, v155
	ds_write_b128 v127, v[209:212] offset:16
	global_load_dword v46, v[34:35], off
	v_add_co_u32 v34, vcc_lo, v246, s2
	v_add_co_ci_u32_e64 v35, null, 0, v162, vcc_lo
	v_mov_b32_e32 v156, v150
	global_load_ushort v47, v[34:35], off
	v_add_co_u32 v34, vcc_lo, v103, s2
	v_add_co_ci_u32_e64 v35, null, 0, v198, vcc_lo
	buffer_load_dword v198, off, s[96:99], 0 offset:40 ; 4-byte Folded Reload
	global_load_dword v48, v[34:35], off
	v_add_co_u32 v34, vcc_lo, v150, s2
	v_add_co_ci_u32_e64 v35, null, 0, v155, vcc_lo
	v_mov_b32_e32 v155, v160
	v_mov_b32_e32 v150, v101
	global_load_ushort v34, v[34:35], off
	s_waitcnt vmcnt(4)
	v_ashrrev_i32_e32 v35, v1, v46
	v_and_b32_e32 v35, 0xf0f0f0f, v35
	s_waitcnt vmcnt(3)
	v_mul_u32_u24_e32 v47, 0x10001, v47
	v_lshlrev_b16 v46, 8, v35
	v_and_b32_e32 v49, 0xf00, v35
	v_lshrrev_b32_e32 v35, 16, v35
	v_add_nc_u16 v46, 0xf800, v46
	v_or_b32_sdwa v46, v49, v46 dst_sel:DWORD dst_unused:UNUSED_PAD src0_sel:DWORD src1_sel:BYTE_1
	v_lshlrev_b16 v49, 8, v35
	v_and_b32_e32 v35, 0xf00, v35
	s_waitcnt vmcnt(0)
	v_mul_u32_u24_e32 v34, 0x10001, v34
	v_add_nc_u16 v46, 0xf800, v46
	v_add_nc_u16 v49, 0xf800, v49
	v_or_b32_sdwa v35, v35, v49 dst_sel:DWORD dst_unused:UNUSED_PAD src0_sel:DWORD src1_sel:BYTE_1
	v_lshrrev_b32_e32 v49, 8, v46
	v_cvt_f16_i16_sdwa v46, sext(v46) dst_sel:DWORD dst_unused:UNUSED_PAD src0_sel:BYTE_0
	v_add_nc_u16 v35, 0xf800, v35
	v_cvt_f16_i16_sdwa v49, sext(v49) dst_sel:DWORD dst_unused:UNUSED_PAD src0_sel:BYTE_0
	v_pack_b32_f16 v46, v46, v49
	v_lshrrev_b32_e32 v49, 8, v35
	v_cvt_f16_i16_sdwa v35, sext(v35) dst_sel:DWORD dst_unused:UNUSED_PAD src0_sel:BYTE_0
	v_pk_mul_f16 v50, v46, v47
	v_cvt_f16_i16_sdwa v49, sext(v49) dst_sel:DWORD dst_unused:UNUSED_PAD src0_sel:BYTE_0
	v_ashrrev_i32_e32 v46, v1, v48
	v_pack_b32_f16 v35, v35, v49
	v_and_b32_e32 v46, 0xf0f0f0f, v46
	v_mul_u32_u24_sdwa v49, v36, v208 dst_sel:DWORD dst_unused:UNUSED_PAD src0_sel:WORD_0 src1_sel:DWORD
	v_mul_u32_u24_sdwa v36, v36, v208 dst_sel:DWORD dst_unused:UNUSED_PAD src0_sel:WORD_1 src1_sel:DWORD
	v_pk_mul_f16 v35, v35, v47
	v_lshlrev_b16 v47, 8, v46
	v_and_b32_e32 v48, 0xf00, v46
	v_lshrrev_b32_e32 v46, 16, v46
	v_add_nc_u16 v47, 0xf800, v47
	v_or_b32_sdwa v47, v48, v47 dst_sel:DWORD dst_unused:UNUSED_PAD src0_sel:DWORD src1_sel:BYTE_1
	v_lshlrev_b16 v48, 8, v46
	v_and_b32_e32 v46, 0xf00, v46
	v_add_nc_u16 v47, 0xf800, v47
	v_add_nc_u16 v48, 0xf800, v48
	v_or_b32_sdwa v46, v46, v48 dst_sel:DWORD dst_unused:UNUSED_PAD src0_sel:DWORD src1_sel:BYTE_1
	v_lshrrev_b32_e32 v48, 8, v47
	v_cvt_f16_i16_sdwa v47, sext(v47) dst_sel:DWORD dst_unused:UNUSED_PAD src0_sel:BYTE_0
	v_add_nc_u16 v46, 0xf800, v46
	v_cvt_f16_i16_sdwa v48, sext(v48) dst_sel:DWORD dst_unused:UNUSED_PAD src0_sel:BYTE_0
	v_pack_b32_f16 v47, v47, v48
	v_lshrrev_b32_e32 v48, 8, v46
	v_cvt_f16_i16_sdwa v46, sext(v46) dst_sel:DWORD dst_unused:UNUSED_PAD src0_sel:BYTE_0
	v_pk_mul_f16 v51, v47, v34
	v_cvt_f16_i16_sdwa v48, sext(v48) dst_sel:DWORD dst_unused:UNUSED_PAD src0_sel:BYTE_0
	v_pk_fma_f16 v47, v35, v49, v214
	v_pk_fma_f16 v214, v35, v122, v210
	v_pack_b32_f16 v46, v46, v48
	v_pk_fma_f16 v48, v51, v49, v215
	v_pk_fma_f16 v215, v51, v122, v211
	v_pk_mul_f16 v34, v46, v34
	v_pk_fma_f16 v46, v50, v49, v213
	v_pk_fma_f16 v213, v50, v122, v209
	;; [unrolled: 1-line block ×4, first 2 shown]
	v_add_co_u32 v34, vcc_lo, v235, s2
	v_add_co_ci_u32_e64 v35, null, 0, v153, vcc_lo
	ds_write_b128 v127, v[46:49]
	ds_write_b128 v127, v[213:216] offset:16
	global_load_dword v50, v[34:35], off
	v_add_co_u32 v34, vcc_lo, v242, s2
	v_add_co_ci_u32_e64 v35, null, 0, v160, vcc_lo
	v_mov_b32_e32 v160, v153
	v_mov_b32_e32 v153, v107
	global_load_ushort v51, v[34:35], off
	v_add_co_u32 v34, vcc_lo, v221, s2
	v_add_co_ci_u32_e64 v35, null, 0, v149, vcc_lo
	global_load_dword v122, v[34:35], off
	v_add_co_u32 v34, vcc_lo, v101, s2
	v_add_co_ci_u32_e64 v35, null, 0, v248, vcc_lo
	v_mov_b32_e32 v101, v99
	global_load_ushort v34, v[34:35], off
	s_waitcnt vmcnt(3)
	v_ashrrev_i32_e32 v35, v1, v50
	v_and_b32_e32 v35, 0xf0f0f0f, v35
	s_waitcnt vmcnt(2)
	v_mul_u32_u24_e32 v51, 0x10001, v51
	v_lshlrev_b16 v50, 8, v35
	v_and_b32_e32 v123, 0xf00, v35
	v_lshrrev_b32_e32 v35, 16, v35
	v_add_nc_u16 v50, 0xf800, v50
	v_or_b32_sdwa v50, v123, v50 dst_sel:DWORD dst_unused:UNUSED_PAD src0_sel:DWORD src1_sel:BYTE_1
	v_lshlrev_b16 v123, 8, v35
	v_and_b32_e32 v35, 0xf00, v35
	s_waitcnt vmcnt(0)
	v_mul_u32_u24_e32 v34, 0x10001, v34
	v_add_nc_u16 v50, 0xf800, v50
	v_add_nc_u16 v123, 0xf800, v123
	v_or_b32_sdwa v35, v35, v123 dst_sel:DWORD dst_unused:UNUSED_PAD src0_sel:DWORD src1_sel:BYTE_1
	v_lshrrev_b32_e32 v123, 8, v50
	v_cvt_f16_i16_sdwa v50, sext(v50) dst_sel:DWORD dst_unused:UNUSED_PAD src0_sel:BYTE_0
	v_add_nc_u16 v35, 0xf800, v35
	v_cvt_f16_i16_sdwa v123, sext(v123) dst_sel:DWORD dst_unused:UNUSED_PAD src0_sel:BYTE_0
	v_pack_b32_f16 v50, v50, v123
	v_lshrrev_b32_e32 v123, 8, v35
	v_cvt_f16_i16_sdwa v35, sext(v35) dst_sel:DWORD dst_unused:UNUSED_PAD src0_sel:BYTE_0
	v_pk_mul_f16 v50, v50, v51
	v_cvt_f16_i16_sdwa v123, sext(v123) dst_sel:DWORD dst_unused:UNUSED_PAD src0_sel:BYTE_0
	v_pk_fma_f16 v209, v50, v36, v46
	v_pack_b32_f16 v35, v35, v123
	v_pk_mul_f16 v35, v35, v51
	v_ashrrev_i32_e32 v51, v1, v122
	v_pk_fma_f16 v210, v35, v36, v47
	v_and_b32_e32 v51, 0xf0f0f0f, v51
	v_lshlrev_b16 v122, 8, v51
	v_and_b32_e32 v123, 0xf00, v51
	v_lshrrev_b32_e32 v51, 16, v51
	v_add_nc_u16 v122, 0xf800, v122
	v_or_b32_sdwa v122, v123, v122 dst_sel:DWORD dst_unused:UNUSED_PAD src0_sel:DWORD src1_sel:BYTE_1
	v_lshlrev_b16 v123, 8, v51
	v_and_b32_e32 v51, 0xf00, v51
	v_add_nc_u16 v122, 0xf800, v122
	v_add_nc_u16 v123, 0xf800, v123
	v_or_b32_sdwa v51, v51, v123 dst_sel:DWORD dst_unused:UNUSED_PAD src0_sel:DWORD src1_sel:BYTE_1
	v_lshrrev_b32_e32 v123, 8, v122
	v_cvt_f16_i16_sdwa v122, sext(v122) dst_sel:DWORD dst_unused:UNUSED_PAD src0_sel:BYTE_0
	v_add_nc_u16 v51, 0xf800, v51
	v_cvt_f16_i16_sdwa v123, sext(v123) dst_sel:DWORD dst_unused:UNUSED_PAD src0_sel:BYTE_0
	v_pack_b32_f16 v122, v122, v123
	v_lshrrev_b32_e32 v123, 8, v51
	v_cvt_f16_i16_sdwa v51, sext(v51) dst_sel:DWORD dst_unused:UNUSED_PAD src0_sel:BYTE_0
	v_pk_mul_f16 v122, v122, v34
	v_cvt_f16_i16_sdwa v123, sext(v123) dst_sel:DWORD dst_unused:UNUSED_PAD src0_sel:BYTE_0
	v_pk_fma_f16 v211, v122, v36, v48
	v_pack_b32_f16 v51, v51, v123
	v_pk_mul_f16 v34, v51, v34
	v_pk_fma_f16 v212, v34, v36, v49
	v_mul_u32_u24_sdwa v36, v52, v208 dst_sel:DWORD dst_unused:UNUSED_PAD src0_sel:WORD_1 src1_sel:DWORD
	ds_write_b128 v127, v[209:212]
	v_pk_fma_f16 v49, v34, v36, v216
	v_add_co_u32 v34, vcc_lo, v144, s2
	v_pk_fma_f16 v47, v35, v36, v214
	v_add_co_ci_u32_e64 v35, null, 0, v145, vcc_lo
	v_pk_fma_f16 v46, v50, v36, v213
	v_pk_fma_f16 v48, v122, v36, v215
	v_mov_b32_e32 v145, v144
	global_load_dword v36, v[34:35], off
	v_add_co_u32 v34, vcc_lo, v164, s2
	v_add_co_ci_u32_e64 v35, null, 0, v223, vcc_lo
	ds_write_b128 v127, v[46:49] offset:16
	v_mov_b32_e32 v144, v143
	v_mov_b32_e32 v164, v162
	global_load_ushort v50, v[34:35], off
	v_add_co_u32 v34, vcc_lo, v198, s2
	v_add_co_ci_u32_e64 v35, null, 0, v249, vcc_lo
	v_mov_b32_e32 v249, v224
	v_mov_b32_e32 v162, v134
	;; [unrolled: 1-line block ×3, first 2 shown]
	global_load_dword v51, v[34:35], off
	v_add_co_u32 v34, vcc_lo, v142, s2
	v_add_co_ci_u32_e64 v35, null, 0, v143, vcc_lo
	v_mov_b32_e32 v143, v142
	v_mov_b32_e32 v142, v139
	;; [unrolled: 1-line block ×3, first 2 shown]
	global_load_ushort v34, v[34:35], off
	v_mov_b32_e32 v192, v108
	v_mov_b32_e32 v108, v244
	s_waitcnt vmcnt(3)
	v_ashrrev_i32_e32 v35, v1, v36
	v_and_b32_e32 v35, 0xf0f0f0f, v35
	s_waitcnt vmcnt(2)
	v_mul_u32_u24_e32 v50, 0x10001, v50
	v_lshlrev_b16 v36, 8, v35
	v_and_b32_e32 v52, 0xf00, v35
	v_lshrrev_b32_e32 v35, 16, v35
	v_add_nc_u16 v36, 0xf800, v36
	v_or_b32_sdwa v36, v52, v36 dst_sel:DWORD dst_unused:UNUSED_PAD src0_sel:DWORD src1_sel:BYTE_1
	v_lshlrev_b16 v52, 8, v35
	v_and_b32_e32 v35, 0xf00, v35
	s_waitcnt vmcnt(0)
	v_mul_u32_u24_e32 v34, 0x10001, v34
	v_add_nc_u16 v36, 0xf800, v36
	v_add_nc_u16 v52, 0xf800, v52
	v_or_b32_sdwa v35, v35, v52 dst_sel:DWORD dst_unused:UNUSED_PAD src0_sel:DWORD src1_sel:BYTE_1
	v_lshrrev_b32_e32 v52, 8, v36
	v_cvt_f16_i16_sdwa v36, sext(v36) dst_sel:DWORD dst_unused:UNUSED_PAD src0_sel:BYTE_0
	v_add_nc_u16 v35, 0xf800, v35
	v_cvt_f16_i16_sdwa v52, sext(v52) dst_sel:DWORD dst_unused:UNUSED_PAD src0_sel:BYTE_0
	v_pack_b32_f16 v36, v36, v52
	v_lshrrev_b32_e32 v52, 8, v35
	v_cvt_f16_i16_sdwa v35, sext(v35) dst_sel:DWORD dst_unused:UNUSED_PAD src0_sel:BYTE_0
	v_pk_mul_f16 v36, v36, v50
	v_cvt_f16_i16_sdwa v52, sext(v52) dst_sel:DWORD dst_unused:UNUSED_PAD src0_sel:BYTE_0
	v_pack_b32_f16 v35, v35, v52
	v_pk_mul_f16 v35, v35, v50
	v_ashrrev_i32_e32 v50, v1, v51
	v_and_b32_e32 v50, 0xf0f0f0f, v50
	v_lshlrev_b16 v51, 8, v50
	v_and_b32_e32 v52, 0xf00, v50
	v_lshrrev_b32_e32 v50, 16, v50
	v_add_nc_u16 v51, 0xf800, v51
	v_or_b32_sdwa v51, v52, v51 dst_sel:DWORD dst_unused:UNUSED_PAD src0_sel:DWORD src1_sel:BYTE_1
	v_lshlrev_b16 v52, 8, v50
	v_and_b32_e32 v50, 0xf00, v50
	v_add_nc_u16 v51, 0xf800, v51
	v_add_nc_u16 v52, 0xf800, v52
	v_or_b32_sdwa v50, v50, v52 dst_sel:DWORD dst_unused:UNUSED_PAD src0_sel:DWORD src1_sel:BYTE_1
	v_lshrrev_b32_e32 v52, 8, v51
	v_cvt_f16_i16_sdwa v51, sext(v51) dst_sel:DWORD dst_unused:UNUSED_PAD src0_sel:BYTE_0
	v_add_nc_u16 v50, 0xf800, v50
	v_cvt_f16_i16_sdwa v52, sext(v52) dst_sel:DWORD dst_unused:UNUSED_PAD src0_sel:BYTE_0
	v_pack_b32_f16 v51, v51, v52
	v_lshrrev_b32_e32 v52, 8, v50
	v_cvt_f16_i16_sdwa v50, sext(v50) dst_sel:DWORD dst_unused:UNUSED_PAD src0_sel:BYTE_0
	v_pk_mul_f16 v51, v51, v34
	v_cvt_f16_i16_sdwa v52, sext(v52) dst_sel:DWORD dst_unused:UNUSED_PAD src0_sel:BYTE_0
	v_pack_b32_f16 v50, v50, v52
	v_mul_u32_u24_sdwa v52, v53, v208 dst_sel:DWORD dst_unused:UNUSED_PAD src0_sel:WORD_1 src1_sel:DWORD
	v_pk_mul_f16 v34, v50, v34
	v_mul_u32_u24_sdwa v50, v37, v208 dst_sel:DWORD dst_unused:UNUSED_PAD src0_sel:WORD_0 src1_sel:DWORD
	v_mul_u32_u24_sdwa v37, v37, v208 dst_sel:DWORD dst_unused:UNUSED_PAD src0_sel:WORD_1 src1_sel:DWORD
	v_pk_fma_f16 v213, v36, v50, v209
	v_pk_fma_f16 v214, v35, v50, v210
	;; [unrolled: 1-line block ×4, first 2 shown]
	v_mul_u32_u24_sdwa v50, v53, v208 dst_sel:DWORD dst_unused:UNUSED_PAD src0_sel:WORD_0 src1_sel:DWORD
	ds_write_b128 v127, v[213:216]
	v_pk_fma_f16 v212, v34, v50, v49
	v_add_co_u32 v34, vcc_lo, v7, s2
	v_pk_fma_f16 v210, v35, v50, v47
	v_add_co_ci_u32_e64 v35, null, 0, v4, vcc_lo
	v_pk_fma_f16 v209, v36, v50, v46
	v_pk_fma_f16 v211, v51, v50, v48
	global_load_dword v36, v[34:35], off
	v_add_co_u32 v34, vcc_lo, v140, s2
	v_add_co_ci_u32_e64 v35, null, 0, v139, vcc_lo
	ds_write_b128 v127, v[209:212] offset:16
	v_mov_b32_e32 v139, v140
	v_mov_b32_e32 v140, v116
	global_load_ushort v46, v[34:35], off
	v_add_co_u32 v34, vcc_lo, v197, s2
	v_add_co_ci_u32_e64 v35, null, 0, v116, vcc_lo
	v_mov_b32_e32 v116, v113
	global_load_dword v47, v[34:35], off
	v_add_co_u32 v34, vcc_lo, v165, s2
	v_add_co_ci_u32_e64 v35, null, 0, v247, vcc_lo
	global_load_ushort v34, v[34:35], off
	s_waitcnt vmcnt(3)
	v_ashrrev_i32_e32 v35, v1, v36
	v_and_b32_e32 v35, 0xf0f0f0f, v35
	s_waitcnt vmcnt(2)
	v_mul_u32_u24_e32 v46, 0x10001, v46
	v_lshlrev_b16 v36, 8, v35
	v_and_b32_e32 v48, 0xf00, v35
	v_lshrrev_b32_e32 v35, 16, v35
	v_add_nc_u16 v36, 0xf800, v36
	v_or_b32_sdwa v36, v48, v36 dst_sel:DWORD dst_unused:UNUSED_PAD src0_sel:DWORD src1_sel:BYTE_1
	v_lshlrev_b16 v48, 8, v35
	v_and_b32_e32 v35, 0xf00, v35
	s_waitcnt vmcnt(0)
	v_mul_u32_u24_e32 v34, 0x10001, v34
	v_add_nc_u16 v36, 0xf800, v36
	v_add_nc_u16 v48, 0xf800, v48
	v_or_b32_sdwa v35, v35, v48 dst_sel:DWORD dst_unused:UNUSED_PAD src0_sel:DWORD src1_sel:BYTE_1
	v_lshrrev_b32_e32 v48, 8, v36
	v_cvt_f16_i16_sdwa v36, sext(v36) dst_sel:DWORD dst_unused:UNUSED_PAD src0_sel:BYTE_0
	v_add_nc_u16 v35, 0xf800, v35
	v_cvt_f16_i16_sdwa v48, sext(v48) dst_sel:DWORD dst_unused:UNUSED_PAD src0_sel:BYTE_0
	v_pack_b32_f16 v36, v36, v48
	v_lshrrev_b32_e32 v48, 8, v35
	v_cvt_f16_i16_sdwa v35, sext(v35) dst_sel:DWORD dst_unused:UNUSED_PAD src0_sel:BYTE_0
	v_cvt_f16_i16_sdwa v48, sext(v48) dst_sel:DWORD dst_unused:UNUSED_PAD src0_sel:BYTE_0
	v_pack_b32_f16 v35, v35, v48
	v_pk_mul_f16 v48, v36, v46
	v_pk_mul_f16 v49, v35, v46
	v_ashrrev_i32_e32 v35, v1, v47
	v_pk_fma_f16 v47, v49, v52, v210
	v_and_b32_e32 v35, 0xf0f0f0f, v35
	v_mov_b32_e32 v210, v217
	v_lshlrev_b16 v36, 8, v35
	v_and_b32_e32 v46, 0xf00, v35
	v_lshrrev_b32_e32 v35, 16, v35
	v_add_nc_u16 v36, 0xf800, v36
	v_or_b32_sdwa v36, v46, v36 dst_sel:DWORD dst_unused:UNUSED_PAD src0_sel:DWORD src1_sel:BYTE_1
	v_lshlrev_b16 v46, 8, v35
	v_and_b32_e32 v35, 0xf00, v35
	v_add_nc_u16 v36, 0xf800, v36
	v_add_nc_u16 v46, 0xf800, v46
	v_or_b32_sdwa v35, v35, v46 dst_sel:DWORD dst_unused:UNUSED_PAD src0_sel:DWORD src1_sel:BYTE_1
	v_lshrrev_b32_e32 v46, 8, v36
	v_cvt_f16_i16_sdwa v36, sext(v36) dst_sel:DWORD dst_unused:UNUSED_PAD src0_sel:BYTE_0
	v_add_nc_u16 v35, 0xf800, v35
	v_cvt_f16_i16_sdwa v46, sext(v46) dst_sel:DWORD dst_unused:UNUSED_PAD src0_sel:BYTE_0
	v_pack_b32_f16 v36, v36, v46
	v_lshrrev_b32_e32 v46, 8, v35
	v_cvt_f16_i16_sdwa v35, sext(v35) dst_sel:DWORD dst_unused:UNUSED_PAD src0_sel:BYTE_0
	v_pk_mul_f16 v50, v36, v34
	v_cvt_f16_i16_sdwa v46, sext(v46) dst_sel:DWORD dst_unused:UNUSED_PAD src0_sel:BYTE_0
	v_pk_fma_f16 v36, v50, v37, v215
	v_pack_b32_f16 v35, v35, v46
	v_pk_fma_f16 v46, v48, v52, v209
	v_mov_b32_e32 v209, v243
	v_pk_mul_f16 v51, v35, v34
	v_pk_fma_f16 v34, v48, v37, v213
	v_pk_fma_f16 v48, v50, v52, v211
	v_add_co_u32 v50, vcc_lo, v182, s2
	v_pk_fma_f16 v35, v49, v37, v214
	v_pk_fma_f16 v37, v51, v37, v216
	;; [unrolled: 1-line block ×3, first 2 shown]
	v_add_co_ci_u32_e64 v51, null, 0, v113, vcc_lo
	v_mov_b32_e32 v113, v112
	ds_write_b128 v127, v[34:37]
	ds_write_b128 v127, v[46:49] offset:16
	global_load_dword v52, v[50:51], off
	v_add_co_u32 v50, vcc_lo, v129, s2
	v_add_co_ci_u32_e64 v51, null, 0, v161, vcc_lo
	v_mov_b32_e32 v214, v5
	v_mov_b32_e32 v5, v7
	;; [unrolled: 1-line block ×3, first 2 shown]
	global_load_ushort v53, v[50:51], off
	v_add_co_u32 v50, vcc_lo, v111, s2
	v_add_co_ci_u32_e64 v51, null, 0, v112, vcc_lo
	v_mov_b32_e32 v112, v111
	v_mov_b32_e32 v111, v78
	;; [unrolled: 1-line block ×3, first 2 shown]
	global_load_dword v122, v[50:51], off
	v_add_co_u32 v50, vcc_lo, v76, s2
	v_add_co_ci_u32_e64 v51, null, 0, v181, vcc_lo
	global_load_ushort v50, v[50:51], off
	s_waitcnt vmcnt(3)
	v_ashrrev_i32_e32 v51, v1, v52
	v_and_b32_e32 v51, 0xf0f0f0f, v51
	s_waitcnt vmcnt(2)
	v_mul_u32_u24_e32 v53, 0x10001, v53
	v_lshlrev_b16 v52, 8, v51
	v_and_b32_e32 v123, 0xf00, v51
	v_lshrrev_b32_e32 v51, 16, v51
	v_add_nc_u16 v52, 0xf800, v52
	v_or_b32_sdwa v52, v123, v52 dst_sel:DWORD dst_unused:UNUSED_PAD src0_sel:DWORD src1_sel:BYTE_1
	v_lshlrev_b16 v123, 8, v51
	v_and_b32_e32 v51, 0xf00, v51
	s_waitcnt vmcnt(0)
	v_mul_u32_u24_e32 v50, 0x10001, v50
	v_add_nc_u16 v52, 0xf800, v52
	v_add_nc_u16 v123, 0xf800, v123
	v_or_b32_sdwa v51, v51, v123 dst_sel:DWORD dst_unused:UNUSED_PAD src0_sel:DWORD src1_sel:BYTE_1
	v_lshrrev_b32_e32 v123, 8, v52
	v_cvt_f16_i16_sdwa v52, sext(v52) dst_sel:DWORD dst_unused:UNUSED_PAD src0_sel:BYTE_0
	v_add_nc_u16 v51, 0xf800, v51
	v_cvt_f16_i16_sdwa v123, sext(v123) dst_sel:DWORD dst_unused:UNUSED_PAD src0_sel:BYTE_0
	v_pack_b32_f16 v52, v52, v123
	v_lshrrev_b32_e32 v123, 8, v51
	v_cvt_f16_i16_sdwa v51, sext(v51) dst_sel:DWORD dst_unused:UNUSED_PAD src0_sel:BYTE_0
	v_cvt_f16_i16_sdwa v123, sext(v123) dst_sel:DWORD dst_unused:UNUSED_PAD src0_sel:BYTE_0
	v_pack_b32_f16 v51, v51, v123
	v_pk_mul_f16 v123, v52, v53
	v_pk_mul_f16 v124, v51, v53
	v_ashrrev_i32_e32 v51, v1, v122
	v_and_b32_e32 v51, 0xf0f0f0f, v51
	v_lshlrev_b16 v52, 8, v51
	v_and_b32_e32 v53, 0xf00, v51
	v_lshrrev_b32_e32 v51, 16, v51
	v_add_nc_u16 v52, 0xf800, v52
	v_or_b32_sdwa v52, v53, v52 dst_sel:DWORD dst_unused:UNUSED_PAD src0_sel:DWORD src1_sel:BYTE_1
	v_lshlrev_b16 v53, 8, v51
	v_and_b32_e32 v51, 0xf00, v51
	v_add_nc_u16 v52, 0xf800, v52
	v_add_nc_u16 v53, 0xf800, v53
	v_or_b32_sdwa v51, v51, v53 dst_sel:DWORD dst_unused:UNUSED_PAD src0_sel:DWORD src1_sel:BYTE_1
	v_lshrrev_b32_e32 v53, 8, v52
	v_cvt_f16_i16_sdwa v52, sext(v52) dst_sel:DWORD dst_unused:UNUSED_PAD src0_sel:BYTE_0
	v_add_nc_u16 v51, 0xf800, v51
	v_cvt_f16_i16_sdwa v53, sext(v53) dst_sel:DWORD dst_unused:UNUSED_PAD src0_sel:BYTE_0
	v_pack_b32_f16 v52, v52, v53
	v_lshrrev_b32_e32 v53, 8, v51
	v_cvt_f16_i16_sdwa v51, sext(v51) dst_sel:DWORD dst_unused:UNUSED_PAD src0_sel:BYTE_0
	v_pk_mul_f16 v122, v52, v50
	v_cvt_f16_i16_sdwa v53, sext(v53) dst_sel:DWORD dst_unused:UNUSED_PAD src0_sel:BYTE_0
	v_pack_b32_f16 v51, v51, v53
	v_mul_u32_u24_sdwa v53, v42, v208 dst_sel:DWORD dst_unused:UNUSED_PAD src0_sel:WORD_0 src1_sel:DWORD
	v_mul_u32_u24_sdwa v42, v42, v208 dst_sel:DWORD dst_unused:UNUSED_PAD src0_sel:WORD_1 src1_sel:DWORD
	v_pk_mul_f16 v128, v51, v50
	v_pk_fma_f16 v50, v123, v53, v34
	v_pk_fma_f16 v51, v124, v53, v35
	;; [unrolled: 1-line block ×4, first 2 shown]
	s_waitcnt lgkmcnt(17)
	v_mul_u32_u24_sdwa v37, v38, v208 dst_sel:DWORD dst_unused:UNUSED_PAD src0_sel:WORD_0 src1_sel:DWORD
	v_mul_u32_u24_sdwa v38, v38, v208 dst_sel:DWORD dst_unused:UNUSED_PAD src0_sel:WORD_1 src1_sel:DWORD
	ds_write_b128 v127, v[50:53]
	v_pk_fma_f16 v34, v123, v37, v46
	v_add_co_u32 v46, vcc_lo, v105, s2
	v_pk_fma_f16 v35, v124, v37, v47
	v_add_co_ci_u32_e64 v47, null, 0, v107, vcc_lo
	v_pk_fma_f16 v36, v122, v37, v48
	v_pk_fma_f16 v37, v128, v37, v49
	v_mov_b32_e32 v107, v105
	global_load_dword v48, v[46:47], off
	v_add_co_u32 v46, vcc_lo, v185, s2
	v_add_co_ci_u32_e64 v47, null, 0, v78, vcc_lo
	ds_write_b128 v127, v[34:37] offset:16
	buffer_load_dword v78, off, s[96:99], 0 offset:1080 ; 4-byte Folded Reload
	v_mov_b32_e32 v105, v80
	global_load_ushort v49, v[46:47], off
	v_add_co_u32 v46, vcc_lo, v106, s2
	v_add_co_ci_u32_e64 v47, null, 0, v110, vcc_lo
	global_load_dword v122, v[46:47], off
	v_add_co_u32 v46, vcc_lo, v117, s2
	v_add_co_ci_u32_e64 v47, null, 0, v6, vcc_lo
	global_load_ushort v46, v[46:47], off
	s_waitcnt vmcnt(4)
	v_ashrrev_i32_e32 v47, v1, v48
	v_and_b32_e32 v47, 0xf0f0f0f, v47
	s_waitcnt vmcnt(2)
	v_mul_u32_u24_e32 v49, 0x10001, v49
	v_lshlrev_b16 v48, 8, v47
	v_and_b32_e32 v123, 0xf00, v47
	v_lshrrev_b32_e32 v47, 16, v47
	v_add_nc_u16 v48, 0xf800, v48
	v_or_b32_sdwa v48, v123, v48 dst_sel:DWORD dst_unused:UNUSED_PAD src0_sel:DWORD src1_sel:BYTE_1
	v_lshlrev_b16 v123, 8, v47
	v_and_b32_e32 v47, 0xf00, v47
	s_waitcnt vmcnt(0)
	v_mul_u32_u24_e32 v46, 0x10001, v46
	v_add_nc_u16 v48, 0xf800, v48
	v_add_nc_u16 v123, 0xf800, v123
	v_or_b32_sdwa v47, v47, v123 dst_sel:DWORD dst_unused:UNUSED_PAD src0_sel:DWORD src1_sel:BYTE_1
	v_lshrrev_b32_e32 v123, 8, v48
	v_cvt_f16_i16_sdwa v48, sext(v48) dst_sel:DWORD dst_unused:UNUSED_PAD src0_sel:BYTE_0
	v_add_nc_u16 v47, 0xf800, v47
	v_cvt_f16_i16_sdwa v123, sext(v123) dst_sel:DWORD dst_unused:UNUSED_PAD src0_sel:BYTE_0
	v_pack_b32_f16 v48, v48, v123
	v_lshrrev_b32_e32 v123, 8, v47
	v_cvt_f16_i16_sdwa v47, sext(v47) dst_sel:DWORD dst_unused:UNUSED_PAD src0_sel:BYTE_0
	v_cvt_f16_i16_sdwa v123, sext(v123) dst_sel:DWORD dst_unused:UNUSED_PAD src0_sel:BYTE_0
	v_pack_b32_f16 v47, v47, v123
	v_pk_mul_f16 v123, v48, v49
	v_pk_mul_f16 v124, v47, v49
	v_ashrrev_i32_e32 v47, v1, v122
	v_and_b32_e32 v47, 0xf0f0f0f, v47
	v_lshlrev_b16 v48, 8, v47
	v_and_b32_e32 v49, 0xf00, v47
	v_lshrrev_b32_e32 v47, 16, v47
	v_add_nc_u16 v48, 0xf800, v48
	v_or_b32_sdwa v48, v49, v48 dst_sel:DWORD dst_unused:UNUSED_PAD src0_sel:DWORD src1_sel:BYTE_1
	v_lshlrev_b16 v49, 8, v47
	v_and_b32_e32 v47, 0xf00, v47
	v_add_nc_u16 v48, 0xf800, v48
	v_add_nc_u16 v49, 0xf800, v49
	v_or_b32_sdwa v47, v47, v49 dst_sel:DWORD dst_unused:UNUSED_PAD src0_sel:DWORD src1_sel:BYTE_1
	v_lshrrev_b32_e32 v49, 8, v48
	v_cvt_f16_i16_sdwa v48, sext(v48) dst_sel:DWORD dst_unused:UNUSED_PAD src0_sel:BYTE_0
	v_add_nc_u16 v47, 0xf800, v47
	v_cvt_f16_i16_sdwa v49, sext(v49) dst_sel:DWORD dst_unused:UNUSED_PAD src0_sel:BYTE_0
	v_pack_b32_f16 v48, v48, v49
	v_lshrrev_b32_e32 v49, 8, v47
	v_cvt_f16_i16_sdwa v47, sext(v47) dst_sel:DWORD dst_unused:UNUSED_PAD src0_sel:BYTE_0
	v_pk_mul_f16 v122, v48, v46
	v_cvt_f16_i16_sdwa v49, sext(v49) dst_sel:DWORD dst_unused:UNUSED_PAD src0_sel:BYTE_0
	v_pk_fma_f16 v48, v122, v42, v52
	v_pack_b32_f16 v47, v47, v49
	v_pk_fma_f16 v52, v122, v38, v36
	v_pk_mul_f16 v128, v47, v46
	v_pk_fma_f16 v46, v123, v42, v50
	v_pk_fma_f16 v50, v123, v38, v34
	v_add_co_u32 v34, vcc_lo, v102, s2
	v_pk_fma_f16 v47, v124, v42, v51
	v_pk_fma_f16 v51, v124, v38, v35
	v_add_co_ci_u32_e64 v35, null, 0, v97, vcc_lo
	v_pk_fma_f16 v49, v128, v42, v53
	v_pk_fma_f16 v53, v128, v38, v37
	global_load_dword v36, v[34:35], off
	v_add_co_u32 v34, vcc_lo, v218, s2
	v_add_co_ci_u32_e64 v35, null, 0, v233, vcc_lo
	ds_write_b128 v127, v[46:49]
	ds_write_b128 v127, v[50:53] offset:16
	global_load_ushort v37, v[34:35], off
	v_add_co_u32 v34, vcc_lo, v100, s2
	v_add_co_ci_u32_e64 v35, null, 0, v99, vcc_lo
	v_mov_b32_e32 v99, v95
	global_load_dword v38, v[34:35], off
	v_add_co_u32 v34, vcc_lo, v176, s2
	v_add_co_ci_u32_e64 v35, null, 0, v177, vcc_lo
	global_load_ushort v34, v[34:35], off
	s_waitcnt vmcnt(3)
	v_ashrrev_i32_e32 v35, v1, v36
	v_and_b32_e32 v35, 0xf0f0f0f, v35
	s_waitcnt vmcnt(2)
	v_mul_u32_u24_e32 v37, 0x10001, v37
	v_lshlrev_b16 v36, 8, v35
	v_and_b32_e32 v42, 0xf00, v35
	v_lshrrev_b32_e32 v35, 16, v35
	v_add_nc_u16 v36, 0xf800, v36
	v_or_b32_sdwa v36, v42, v36 dst_sel:DWORD dst_unused:UNUSED_PAD src0_sel:DWORD src1_sel:BYTE_1
	v_lshlrev_b16 v42, 8, v35
	v_and_b32_e32 v35, 0xf00, v35
	s_waitcnt vmcnt(0)
	v_mul_u32_u24_e32 v34, 0x10001, v34
	v_add_nc_u16 v36, 0xf800, v36
	v_add_nc_u16 v42, 0xf800, v42
	v_or_b32_sdwa v35, v35, v42 dst_sel:DWORD dst_unused:UNUSED_PAD src0_sel:DWORD src1_sel:BYTE_1
	v_lshrrev_b32_e32 v42, 8, v36
	v_cvt_f16_i16_sdwa v36, sext(v36) dst_sel:DWORD dst_unused:UNUSED_PAD src0_sel:BYTE_0
	v_add_nc_u16 v35, 0xf800, v35
	v_cvt_f16_i16_sdwa v42, sext(v42) dst_sel:DWORD dst_unused:UNUSED_PAD src0_sel:BYTE_0
	v_pack_b32_f16 v36, v36, v42
	v_lshrrev_b32_e32 v42, 8, v35
	v_cvt_f16_i16_sdwa v35, sext(v35) dst_sel:DWORD dst_unused:UNUSED_PAD src0_sel:BYTE_0
	v_cvt_f16_i16_sdwa v42, sext(v42) dst_sel:DWORD dst_unused:UNUSED_PAD src0_sel:BYTE_0
	v_pack_b32_f16 v35, v35, v42
	v_pk_mul_f16 v42, v36, v37
	v_pk_mul_f16 v122, v35, v37
	v_ashrrev_i32_e32 v35, v1, v38
	v_and_b32_e32 v35, 0xf0f0f0f, v35
	v_lshlrev_b16 v36, 8, v35
	v_and_b32_e32 v37, 0xf00, v35
	v_lshrrev_b32_e32 v35, 16, v35
	v_add_nc_u16 v36, 0xf800, v36
	v_or_b32_sdwa v36, v37, v36 dst_sel:DWORD dst_unused:UNUSED_PAD src0_sel:DWORD src1_sel:BYTE_1
	v_lshlrev_b16 v37, 8, v35
	v_and_b32_e32 v35, 0xf00, v35
	v_add_nc_u16 v36, 0xf800, v36
	v_add_nc_u16 v37, 0xf800, v37
	v_or_b32_sdwa v35, v35, v37 dst_sel:DWORD dst_unused:UNUSED_PAD src0_sel:DWORD src1_sel:BYTE_1
	v_lshrrev_b32_e32 v37, 8, v36
	v_cvt_f16_i16_sdwa v36, sext(v36) dst_sel:DWORD dst_unused:UNUSED_PAD src0_sel:BYTE_0
	v_add_nc_u16 v35, 0xf800, v35
	v_cvt_f16_i16_sdwa v37, sext(v37) dst_sel:DWORD dst_unused:UNUSED_PAD src0_sel:BYTE_0
	v_pack_b32_f16 v36, v36, v37
	v_lshrrev_b32_e32 v37, 8, v35
	v_cvt_f16_i16_sdwa v35, sext(v35) dst_sel:DWORD dst_unused:UNUSED_PAD src0_sel:BYTE_0
	v_pk_mul_f16 v38, v36, v34
	v_cvt_f16_i16_sdwa v37, sext(v37) dst_sel:DWORD dst_unused:UNUSED_PAD src0_sel:BYTE_0
	v_pack_b32_f16 v35, v35, v37
	v_mul_u32_u24_sdwa v37, v43, v208 dst_sel:DWORD dst_unused:UNUSED_PAD src0_sel:WORD_0 src1_sel:DWORD
	v_mul_u32_u24_sdwa v43, v43, v208 dst_sel:DWORD dst_unused:UNUSED_PAD src0_sel:WORD_1 src1_sel:DWORD
	v_pk_mul_f16 v123, v35, v34
	v_pk_fma_f16 v34, v42, v37, v46
	v_pk_fma_f16 v35, v122, v37, v47
	;; [unrolled: 1-line block ×4, first 2 shown]
	v_mul_u32_u24_sdwa v49, v39, v208 dst_sel:DWORD dst_unused:UNUSED_PAD src0_sel:WORD_0 src1_sel:DWORD
	ds_write_b128 v127, v[34:37]
	v_pk_fma_f16 v46, v42, v49, v50
	v_add_co_u32 v50, vcc_lo, v96, s2
	v_pk_fma_f16 v47, v122, v49, v51
	v_add_co_ci_u32_e64 v51, null, 0, v109, vcc_lo
	v_pk_fma_f16 v48, v38, v49, v52
	v_pk_fma_f16 v49, v123, v49, v53
	global_load_dword v38, v[50:51], off
	v_add_co_u32 v50, vcc_lo, v175, s2
	v_add_co_ci_u32_e64 v51, null, 0, v95, vcc_lo
	ds_write_b128 v127, v[46:49] offset:16
	v_mov_b32_e32 v95, v91
	global_load_ushort v42, v[50:51], off
	v_add_co_u32 v50, vcc_lo, v92, s2
	v_add_co_ci_u32_e64 v51, null, 0, v93, vcc_lo
	global_load_dword v52, v[50:51], off
	v_add_co_u32 v50, vcc_lo, v173, s2
	v_add_co_ci_u32_e64 v51, null, 0, v91, vcc_lo
	v_mov_b32_e32 v91, v89
	global_load_ushort v50, v[50:51], off
	s_waitcnt vmcnt(3)
	v_ashrrev_i32_e32 v38, v1, v38
	v_and_b32_e32 v38, 0xf0f0f0f, v38
	s_waitcnt vmcnt(2)
	v_mul_u32_u24_e32 v42, 0x10001, v42
	v_lshlrev_b16 v51, 8, v38
	v_and_b32_e32 v53, 0xf00, v38
	v_lshrrev_b32_e32 v38, 16, v38
	v_add_nc_u16 v51, 0xf800, v51
	v_or_b32_sdwa v51, v53, v51 dst_sel:DWORD dst_unused:UNUSED_PAD src0_sel:DWORD src1_sel:BYTE_1
	v_lshlrev_b16 v53, 8, v38
	v_and_b32_e32 v38, 0xf00, v38
	s_waitcnt vmcnt(0)
	v_mul_u32_u24_e32 v50, 0x10001, v50
	v_add_nc_u16 v51, 0xf800, v51
	v_add_nc_u16 v53, 0xf800, v53
	v_or_b32_sdwa v38, v38, v53 dst_sel:DWORD dst_unused:UNUSED_PAD src0_sel:DWORD src1_sel:BYTE_1
	v_lshrrev_b32_e32 v53, 8, v51
	v_cvt_f16_i16_sdwa v51, sext(v51) dst_sel:DWORD dst_unused:UNUSED_PAD src0_sel:BYTE_0
	v_add_nc_u16 v38, 0xf800, v38
	v_cvt_f16_i16_sdwa v53, sext(v53) dst_sel:DWORD dst_unused:UNUSED_PAD src0_sel:BYTE_0
	v_pack_b32_f16 v51, v51, v53
	v_lshrrev_b32_e32 v53, 8, v38
	v_cvt_f16_i16_sdwa v38, sext(v38) dst_sel:DWORD dst_unused:UNUSED_PAD src0_sel:BYTE_0
	v_pk_mul_f16 v122, v51, v42
	v_cvt_f16_i16_sdwa v53, sext(v53) dst_sel:DWORD dst_unused:UNUSED_PAD src0_sel:BYTE_0
	v_pack_b32_f16 v38, v38, v53
	v_pk_mul_f16 v38, v38, v42
	v_ashrrev_i32_e32 v42, v1, v52
	v_and_b32_e32 v42, 0xf0f0f0f, v42
	v_lshlrev_b16 v51, 8, v42
	v_and_b32_e32 v52, 0xf00, v42
	v_lshrrev_b32_e32 v42, 16, v42
	v_add_nc_u16 v51, 0xf800, v51
	v_or_b32_sdwa v51, v52, v51 dst_sel:DWORD dst_unused:UNUSED_PAD src0_sel:DWORD src1_sel:BYTE_1
	v_lshlrev_b16 v52, 8, v42
	v_and_b32_e32 v42, 0xf00, v42
	v_add_nc_u16 v51, 0xf800, v51
	v_add_nc_u16 v52, 0xf800, v52
	v_or_b32_sdwa v42, v42, v52 dst_sel:DWORD dst_unused:UNUSED_PAD src0_sel:DWORD src1_sel:BYTE_1
	v_lshrrev_b32_e32 v52, 8, v51
	v_cvt_f16_i16_sdwa v51, sext(v51) dst_sel:DWORD dst_unused:UNUSED_PAD src0_sel:BYTE_0
	v_add_nc_u16 v42, 0xf800, v42
	v_cvt_f16_i16_sdwa v52, sext(v52) dst_sel:DWORD dst_unused:UNUSED_PAD src0_sel:BYTE_0
	v_pack_b32_f16 v51, v51, v52
	v_lshrrev_b32_e32 v52, 8, v42
	v_cvt_f16_i16_sdwa v42, sext(v42) dst_sel:DWORD dst_unused:UNUSED_PAD src0_sel:BYTE_0
	v_pk_mul_f16 v123, v51, v50
	v_cvt_f16_i16_sdwa v52, sext(v52) dst_sel:DWORD dst_unused:UNUSED_PAD src0_sel:BYTE_0
	v_pk_fma_f16 v51, v38, v43, v35
	v_pack_b32_f16 v42, v42, v52
	v_pk_fma_f16 v52, v123, v43, v36
	v_pk_mul_f16 v42, v42, v50
	v_pk_fma_f16 v50, v122, v43, v34
	v_pk_fma_f16 v53, v42, v43, v37
	v_mul_u32_u24_sdwa v37, v39, v208 dst_sel:DWORD dst_unused:UNUSED_PAD src0_sel:WORD_1 src1_sel:DWORD
	ds_write_b128 v127, v[50:53]
	v_pk_fma_f16 v36, v123, v37, v48
	buffer_load_dword v123, off, s[96:99], 0 offset:940 ; 4-byte Folded Reload
	v_pk_fma_f16 v35, v38, v37, v47
	v_add_co_u32 v38, vcc_lo, v89, s2
	v_pk_fma_f16 v34, v122, v37, v46
	v_pk_fma_f16 v37, v42, v37, v49
	v_mov_b32_e32 v89, v84
	ds_write_b128 v127, v[34:37] offset:16
	s_waitcnt vmcnt(0)
	v_add_co_ci_u32_e64 v39, null, 0, v123, vcc_lo
	global_load_dword v42, v[38:39], off
	v_add_co_u32 v38, vcc_lo, v172, s2
	v_add_co_ci_u32_e64 v39, null, 0, v195, vcc_lo
	global_load_ushort v43, v[38:39], off
	v_add_co_u32 v38, vcc_lo, v88, s2
	v_add_co_ci_u32_e64 v39, null, 0, v84, vcc_lo
	v_mov_b32_e32 v84, v81
	global_load_dword v46, v[38:39], off
	v_add_co_u32 v38, vcc_lo, v238, s2
	v_add_co_ci_u32_e64 v39, null, 0, v87, vcc_lo
	v_mov_b32_e32 v87, v82
	global_load_ushort v38, v[38:39], off
	s_waitcnt vmcnt(3)
	v_ashrrev_i32_e32 v39, v1, v42
	v_and_b32_e32 v39, 0xf0f0f0f, v39
	s_waitcnt vmcnt(2)
	v_mul_u32_u24_e32 v43, 0x10001, v43
	v_lshlrev_b16 v42, 8, v39
	v_and_b32_e32 v47, 0xf00, v39
	v_lshrrev_b32_e32 v39, 16, v39
	v_add_nc_u16 v42, 0xf800, v42
	v_or_b32_sdwa v42, v47, v42 dst_sel:DWORD dst_unused:UNUSED_PAD src0_sel:DWORD src1_sel:BYTE_1
	v_lshlrev_b16 v47, 8, v39
	v_and_b32_e32 v39, 0xf00, v39
	s_waitcnt vmcnt(0)
	v_mul_u32_u24_e32 v38, 0x10001, v38
	v_add_nc_u16 v42, 0xf800, v42
	v_add_nc_u16 v47, 0xf800, v47
	v_or_b32_sdwa v39, v39, v47 dst_sel:DWORD dst_unused:UNUSED_PAD src0_sel:DWORD src1_sel:BYTE_1
	v_lshrrev_b32_e32 v47, 8, v42
	v_cvt_f16_i16_sdwa v42, sext(v42) dst_sel:DWORD dst_unused:UNUSED_PAD src0_sel:BYTE_0
	v_add_nc_u16 v39, 0xf800, v39
	v_cvt_f16_i16_sdwa v47, sext(v47) dst_sel:DWORD dst_unused:UNUSED_PAD src0_sel:BYTE_0
	v_pack_b32_f16 v42, v42, v47
	v_lshrrev_b32_e32 v47, 8, v39
	v_cvt_f16_i16_sdwa v39, sext(v39) dst_sel:DWORD dst_unused:UNUSED_PAD src0_sel:BYTE_0
	v_pk_mul_f16 v42, v42, v43
	v_cvt_f16_i16_sdwa v47, sext(v47) dst_sel:DWORD dst_unused:UNUSED_PAD src0_sel:BYTE_0
	v_pack_b32_f16 v39, v39, v47
	v_pk_mul_f16 v39, v39, v43
	v_ashrrev_i32_e32 v43, v1, v46
	v_and_b32_e32 v43, 0xf0f0f0f, v43
	v_lshlrev_b16 v46, 8, v43
	v_and_b32_e32 v47, 0xf00, v43
	v_lshrrev_b32_e32 v43, 16, v43
	v_add_nc_u16 v46, 0xf800, v46
	v_or_b32_sdwa v46, v47, v46 dst_sel:DWORD dst_unused:UNUSED_PAD src0_sel:DWORD src1_sel:BYTE_1
	v_lshlrev_b16 v47, 8, v43
	v_and_b32_e32 v43, 0xf00, v43
	v_add_nc_u16 v46, 0xf800, v46
	v_add_nc_u16 v47, 0xf800, v47
	v_or_b32_sdwa v43, v43, v47 dst_sel:DWORD dst_unused:UNUSED_PAD src0_sel:DWORD src1_sel:BYTE_1
	v_lshrrev_b32_e32 v47, 8, v46
	v_cvt_f16_i16_sdwa v46, sext(v46) dst_sel:DWORD dst_unused:UNUSED_PAD src0_sel:BYTE_0
	v_add_nc_u16 v43, 0xf800, v43
	v_cvt_f16_i16_sdwa v47, sext(v47) dst_sel:DWORD dst_unused:UNUSED_PAD src0_sel:BYTE_0
	v_pack_b32_f16 v46, v46, v47
	v_lshrrev_b32_e32 v47, 8, v43
	v_cvt_f16_i16_sdwa v43, sext(v43) dst_sel:DWORD dst_unused:UNUSED_PAD src0_sel:BYTE_0
	v_pk_mul_f16 v122, v46, v38
	v_cvt_f16_i16_sdwa v47, sext(v47) dst_sel:DWORD dst_unused:UNUSED_PAD src0_sel:BYTE_0
	v_pack_b32_f16 v43, v43, v47
	v_pk_mul_f16 v38, v43, v38
	v_mul_u32_u24_sdwa v43, v44, v208 dst_sel:DWORD dst_unused:UNUSED_PAD src0_sel:WORD_0 src1_sel:DWORD
	v_pk_fma_f16 v46, v42, v43, v50
	v_pk_fma_f16 v47, v39, v43, v51
	;; [unrolled: 1-line block ×4, first 2 shown]
	v_mul_u32_u24_sdwa v43, v40, v208 dst_sel:DWORD dst_unused:UNUSED_PAD src0_sel:WORD_0 src1_sel:DWORD
	v_mul_u32_u24_sdwa v40, v40, v208 dst_sel:DWORD dst_unused:UNUSED_PAD src0_sel:WORD_1 src1_sel:DWORD
	ds_write_b128 v127, v[46:49]
	v_pk_fma_f16 v50, v42, v43, v34
	v_add_co_u32 v34, vcc_lo, v81, s2
	v_pk_fma_f16 v51, v39, v43, v35
	v_add_co_ci_u32_e64 v35, null, 0, v131, vcc_lo
	v_pk_fma_f16 v52, v122, v43, v36
	v_pk_fma_f16 v53, v38, v43, v37
	v_mov_b32_e32 v81, v70
	global_load_dword v36, v[34:35], off
	v_add_co_u32 v34, vcc_lo, v255, s2
	v_add_co_ci_u32_e64 v35, null, 0, v82, vcc_lo
	v_mov_b32_e32 v82, v74
	ds_write_b128 v127, v[50:53] offset:16
	v_mov_b32_e32 v122, v6
	global_load_ushort v37, v[34:35], off
	v_add_co_u32 v34, vcc_lo, v80, s2
	v_add_co_ci_u32_e64 v35, null, 0, v74, vcc_lo
	buffer_load_dword v80, off, s[96:99], 0 offset:1068 ; 4-byte Folded Reload
	v_mov_b32_e32 v74, v67
	v_mov_b32_e32 v131, v159
	global_load_dword v38, v[34:35], off
	v_add_co_u32 v34, vcc_lo, v83, s2
	v_add_co_ci_u32_e64 v35, null, 0, v73, vcc_lo
	v_mov_b32_e32 v159, v103
	v_mov_b32_e32 v103, v97
	v_mov_b32_e32 v97, v109
	global_load_ushort v34, v[34:35], off
	s_waitcnt vmcnt(4)
	v_ashrrev_i32_e32 v35, v1, v36
	v_and_b32_e32 v35, 0xf0f0f0f, v35
	s_waitcnt vmcnt(3)
	v_mul_u32_u24_e32 v37, 0x10001, v37
	v_lshlrev_b16 v36, 8, v35
	v_and_b32_e32 v39, 0xf00, v35
	v_lshrrev_b32_e32 v35, 16, v35
	v_add_nc_u16 v36, 0xf800, v36
	v_or_b32_sdwa v36, v39, v36 dst_sel:DWORD dst_unused:UNUSED_PAD src0_sel:DWORD src1_sel:BYTE_1
	v_lshlrev_b16 v39, 8, v35
	v_and_b32_e32 v35, 0xf00, v35
	s_waitcnt vmcnt(0)
	v_mul_u32_u24_e32 v34, 0x10001, v34
	v_add_nc_u16 v36, 0xf800, v36
	v_add_nc_u16 v39, 0xf800, v39
	v_or_b32_sdwa v35, v35, v39 dst_sel:DWORD dst_unused:UNUSED_PAD src0_sel:DWORD src1_sel:BYTE_1
	v_lshrrev_b32_e32 v39, 8, v36
	v_cvt_f16_i16_sdwa v36, sext(v36) dst_sel:DWORD dst_unused:UNUSED_PAD src0_sel:BYTE_0
	v_add_nc_u16 v35, 0xf800, v35
	v_cvt_f16_i16_sdwa v39, sext(v39) dst_sel:DWORD dst_unused:UNUSED_PAD src0_sel:BYTE_0
	v_pack_b32_f16 v36, v36, v39
	v_lshrrev_b32_e32 v39, 8, v35
	v_cvt_f16_i16_sdwa v35, sext(v35) dst_sel:DWORD dst_unused:UNUSED_PAD src0_sel:BYTE_0
	v_cvt_f16_i16_sdwa v39, sext(v39) dst_sel:DWORD dst_unused:UNUSED_PAD src0_sel:BYTE_0
	v_pack_b32_f16 v35, v35, v39
	v_pk_mul_f16 v39, v36, v37
	v_pk_mul_f16 v42, v35, v37
	v_ashrrev_i32_e32 v35, v1, v38
	v_and_b32_e32 v35, 0xf0f0f0f, v35
	v_lshlrev_b16 v36, 8, v35
	v_and_b32_e32 v37, 0xf00, v35
	v_lshrrev_b32_e32 v35, 16, v35
	v_add_nc_u16 v36, 0xf800, v36
	v_or_b32_sdwa v36, v37, v36 dst_sel:DWORD dst_unused:UNUSED_PAD src0_sel:DWORD src1_sel:BYTE_1
	v_lshlrev_b16 v37, 8, v35
	v_and_b32_e32 v35, 0xf00, v35
	v_add_nc_u16 v36, 0xf800, v36
	v_add_nc_u16 v37, 0xf800, v37
	v_or_b32_sdwa v35, v35, v37 dst_sel:DWORD dst_unused:UNUSED_PAD src0_sel:DWORD src1_sel:BYTE_1
	v_lshrrev_b32_e32 v37, 8, v36
	v_cvt_f16_i16_sdwa v36, sext(v36) dst_sel:DWORD dst_unused:UNUSED_PAD src0_sel:BYTE_0
	v_add_nc_u16 v35, 0xf800, v35
	v_cvt_f16_i16_sdwa v37, sext(v37) dst_sel:DWORD dst_unused:UNUSED_PAD src0_sel:BYTE_0
	v_pack_b32_f16 v36, v36, v37
	v_lshrrev_b32_e32 v37, 8, v35
	v_cvt_f16_i16_sdwa v35, sext(v35) dst_sel:DWORD dst_unused:UNUSED_PAD src0_sel:BYTE_0
	v_pk_mul_f16 v38, v36, v34
	v_cvt_f16_i16_sdwa v37, sext(v37) dst_sel:DWORD dst_unused:UNUSED_PAD src0_sel:BYTE_0
	v_pack_b32_f16 v35, v35, v37
	v_mul_u32_u24_sdwa v37, v44, v208 dst_sel:DWORD dst_unused:UNUSED_PAD src0_sel:WORD_1 src1_sel:DWORD
	v_pk_mul_f16 v43, v35, v34
	v_pk_fma_f16 v36, v38, v37, v48
	v_pk_fma_f16 v48, v38, v40, v52
	v_add_co_u32 v38, vcc_lo, v67, s2
	v_pk_fma_f16 v34, v39, v37, v46
	v_pk_fma_f16 v46, v39, v40, v50
	v_add_co_ci_u32_e64 v39, null, 0, v75, vcc_lo
	v_pk_fma_f16 v35, v42, v37, v47
	v_pk_fma_f16 v37, v43, v37, v49
	;; [unrolled: 1-line block ×4, first 2 shown]
	global_load_dword v40, v[38:39], off
	buffer_load_dword v67, off, s[96:99], 0 offset:1052 ; 4-byte Folded Reload
	v_add_co_u32 v38, vcc_lo, v80, s2
	v_add_co_ci_u32_e64 v39, null, 0, v77, vcc_lo
	ds_write_b128 v127, v[34:37]
	ds_write_b128 v127, v[46:49] offset:16
	global_load_ushort v42, v[38:39], off
	v_add_co_u32 v38, vcc_lo, v69, s2
	v_add_co_ci_u32_e64 v39, null, 0, v70, vcc_lo
	global_load_dword v43, v[38:39], off
	v_add_co_u32 v38, vcc_lo, v115, s2
	v_add_co_ci_u32_e64 v39, null, 0, v240, vcc_lo
	global_load_ushort v38, v[38:39], off
	s_waitcnt vmcnt(4)
	v_ashrrev_i32_e32 v39, v1, v40
	v_and_b32_e32 v39, 0xf0f0f0f, v39
	s_waitcnt vmcnt(2)
	v_mul_u32_u24_e32 v42, 0x10001, v42
	v_lshlrev_b16 v40, 8, v39
	v_and_b32_e32 v44, 0xf00, v39
	v_lshrrev_b32_e32 v39, 16, v39
	v_add_nc_u16 v40, 0xf800, v40
	v_or_b32_sdwa v40, v44, v40 dst_sel:DWORD dst_unused:UNUSED_PAD src0_sel:DWORD src1_sel:BYTE_1
	v_lshlrev_b16 v44, 8, v39
	v_and_b32_e32 v39, 0xf00, v39
	v_add_nc_u16 v40, 0xf800, v40
	v_add_nc_u16 v44, 0xf800, v44
	s_waitcnt vmcnt(0)
	v_mul_u32_u24_e32 v38, 0x10001, v38
	v_or_b32_sdwa v39, v39, v44 dst_sel:DWORD dst_unused:UNUSED_PAD src0_sel:DWORD src1_sel:BYTE_1
	v_lshrrev_b32_e32 v44, 8, v40
	v_cvt_f16_i16_sdwa v40, sext(v40) dst_sel:DWORD dst_unused:UNUSED_PAD src0_sel:BYTE_0
	v_add_nc_u16 v39, 0xf800, v39
	v_cvt_f16_i16_sdwa v44, sext(v44) dst_sel:DWORD dst_unused:UNUSED_PAD src0_sel:BYTE_0
	v_pack_b32_f16 v40, v40, v44
	v_lshrrev_b32_e32 v44, 8, v39
	v_cvt_f16_i16_sdwa v39, sext(v39) dst_sel:DWORD dst_unused:UNUSED_PAD src0_sel:BYTE_0
	v_pk_mul_f16 v40, v40, v42
	v_cvt_f16_i16_sdwa v44, sext(v44) dst_sel:DWORD dst_unused:UNUSED_PAD src0_sel:BYTE_0
	v_pack_b32_f16 v39, v39, v44
	v_pk_mul_f16 v39, v39, v42
	v_ashrrev_i32_e32 v42, v1, v43
	v_and_b32_e32 v42, 0xf0f0f0f, v42
	v_lshlrev_b16 v43, 8, v42
	v_and_b32_e32 v44, 0xf00, v42
	v_lshrrev_b32_e32 v42, 16, v42
	v_add_nc_u16 v43, 0xf800, v43
	v_or_b32_sdwa v43, v44, v43 dst_sel:DWORD dst_unused:UNUSED_PAD src0_sel:DWORD src1_sel:BYTE_1
	v_lshlrev_b16 v44, 8, v42
	v_and_b32_e32 v42, 0xf00, v42
	v_add_nc_u16 v43, 0xf800, v43
	v_add_nc_u16 v44, 0xf800, v44
	v_or_b32_sdwa v42, v42, v44 dst_sel:DWORD dst_unused:UNUSED_PAD src0_sel:DWORD src1_sel:BYTE_1
	v_lshrrev_b32_e32 v44, 8, v43
	v_cvt_f16_i16_sdwa v43, sext(v43) dst_sel:DWORD dst_unused:UNUSED_PAD src0_sel:BYTE_0
	v_add_nc_u16 v42, 0xf800, v42
	v_cvt_f16_i16_sdwa v44, sext(v44) dst_sel:DWORD dst_unused:UNUSED_PAD src0_sel:BYTE_0
	v_pack_b32_f16 v43, v43, v44
	v_lshrrev_b32_e32 v44, 8, v42
	v_cvt_f16_i16_sdwa v42, sext(v42) dst_sel:DWORD dst_unused:UNUSED_PAD src0_sel:BYTE_0
	v_pk_mul_f16 v43, v43, v38
	v_cvt_f16_i16_sdwa v44, sext(v44) dst_sel:DWORD dst_unused:UNUSED_PAD src0_sel:BYTE_0
	v_pack_b32_f16 v42, v42, v44
	v_pk_mul_f16 v38, v42, v38
	v_mul_u32_u24_sdwa v42, v45, v208 dst_sel:DWORD dst_unused:UNUSED_PAD src0_sel:WORD_0 src1_sel:DWORD
	v_pk_fma_f16 v53, v38, v42, v37
	v_mul_u32_u24_sdwa v37, v41, v208 dst_sel:DWORD dst_unused:UNUSED_PAD src0_sel:WORD_0 src1_sel:DWORD
	v_pk_fma_f16 v50, v40, v42, v34
	v_pk_fma_f16 v51, v39, v42, v35
	;; [unrolled: 1-line block ×3, first 2 shown]
	v_mul_u32_u24_sdwa v41, v41, v208 dst_sel:DWORD dst_unused:UNUSED_PAD src0_sel:WORD_1 src1_sel:DWORD
	v_pk_fma_f16 v34, v40, v37, v46
	v_mul_u32_u24_sdwa v40, v45, v208 dst_sel:DWORD dst_unused:UNUSED_PAD src0_sel:WORD_1 src1_sel:DWORD
	s_clause 0x1
	buffer_load_dword v45, off, s[96:99], 0 offset:1092
	buffer_load_dword v46, off, s[96:99], 0 offset:1100
	v_pk_fma_f16 v35, v39, v37, v47
	v_pk_fma_f16 v36, v43, v37, v48
	;; [unrolled: 1-line block ×3, first 2 shown]
	ds_write_b128 v127, v[50:53]
	s_waitcnt vmcnt(1)
	v_add_co_u32 v38, vcc_lo, v45, s2
	s_waitcnt vmcnt(0)
	v_add_co_ci_u32_e64 v39, null, 0, v46, vcc_lo
	v_mov_b32_e32 v69, v45
	v_mov_b32_e32 v70, v46
	global_load_dword v42, v[38:39], off
	v_add_co_u32 v38, vcc_lo, v169, s2
	v_add_co_ci_u32_e64 v39, null, 0, v170, vcc_lo
	global_load_ushort v43, v[38:39], off
	v_add_co_u32 v38, vcc_lo, v9, s2
	v_add_co_ci_u32_e64 v39, null, 0, v78, vcc_lo
	global_load_dword v44, v[38:39], off
	v_add_co_u32 v38, vcc_lo, v67, s2
	v_add_co_ci_u32_e64 v39, null, 0, v68, vcc_lo
	global_load_ushort v38, v[38:39], off
	s_waitcnt vmcnt(3)
	v_ashrrev_i32_e32 v39, v1, v42
	v_and_b32_e32 v39, 0xf0f0f0f, v39
	s_waitcnt vmcnt(2)
	v_mul_u32_u24_e32 v43, 0x10001, v43
	v_lshlrev_b16 v42, 8, v39
	v_and_b32_e32 v45, 0xf00, v39
	v_lshrrev_b32_e32 v39, 16, v39
	v_add_nc_u16 v42, 0xf800, v42
	v_or_b32_sdwa v42, v45, v42 dst_sel:DWORD dst_unused:UNUSED_PAD src0_sel:DWORD src1_sel:BYTE_1
	v_lshlrev_b16 v45, 8, v39
	v_and_b32_e32 v39, 0xf00, v39
	s_waitcnt vmcnt(0)
	v_mul_u32_u24_e32 v38, 0x10001, v38
	v_add_nc_u16 v42, 0xf800, v42
	v_add_nc_u16 v45, 0xf800, v45
	v_or_b32_sdwa v39, v39, v45 dst_sel:DWORD dst_unused:UNUSED_PAD src0_sel:DWORD src1_sel:BYTE_1
	v_lshrrev_b32_e32 v45, 8, v42
	v_cvt_f16_i16_sdwa v42, sext(v42) dst_sel:DWORD dst_unused:UNUSED_PAD src0_sel:BYTE_0
	v_add_nc_u16 v39, 0xf800, v39
	v_cvt_f16_i16_sdwa v45, sext(v45) dst_sel:DWORD dst_unused:UNUSED_PAD src0_sel:BYTE_0
	v_pack_b32_f16 v42, v42, v45
	v_lshrrev_b32_e32 v45, 8, v39
	v_cvt_f16_i16_sdwa v39, sext(v39) dst_sel:DWORD dst_unused:UNUSED_PAD src0_sel:BYTE_0
	v_pk_mul_f16 v46, v42, v43
	v_cvt_f16_i16_sdwa v45, sext(v45) dst_sel:DWORD dst_unused:UNUSED_PAD src0_sel:BYTE_0
	v_ashrrev_i32_e32 v42, v1, v44
	v_pack_b32_f16 v39, v39, v45
	v_and_b32_e32 v42, 0xf0f0f0f, v42
	v_pk_mul_f16 v39, v39, v43
	v_lshlrev_b16 v43, 8, v42
	v_and_b32_e32 v44, 0xf00, v42
	v_lshrrev_b32_e32 v42, 16, v42
	v_add_nc_u16 v43, 0xf800, v43
	v_or_b32_sdwa v43, v44, v43 dst_sel:DWORD dst_unused:UNUSED_PAD src0_sel:DWORD src1_sel:BYTE_1
	v_lshlrev_b16 v44, 8, v42
	v_and_b32_e32 v42, 0xf00, v42
	v_add_nc_u16 v43, 0xf800, v43
	v_add_nc_u16 v44, 0xf800, v44
	v_or_b32_sdwa v42, v42, v44 dst_sel:DWORD dst_unused:UNUSED_PAD src0_sel:DWORD src1_sel:BYTE_1
	v_lshrrev_b32_e32 v44, 8, v43
	v_cvt_f16_i16_sdwa v43, sext(v43) dst_sel:DWORD dst_unused:UNUSED_PAD src0_sel:BYTE_0
	v_add_nc_u16 v42, 0xf800, v42
	v_cvt_f16_i16_sdwa v44, sext(v44) dst_sel:DWORD dst_unused:UNUSED_PAD src0_sel:BYTE_0
	v_pack_b32_f16 v43, v43, v44
	v_lshrrev_b32_e32 v44, 8, v42
	v_cvt_f16_i16_sdwa v42, sext(v42) dst_sel:DWORD dst_unused:UNUSED_PAD src0_sel:BYTE_0
	v_pk_mul_f16 v47, v43, v38
	v_cvt_f16_i16_sdwa v44, sext(v44) dst_sel:DWORD dst_unused:UNUSED_PAD src0_sel:BYTE_0
	v_pk_fma_f16 v43, v39, v40, v51
	v_pk_fma_f16 v39, v39, v41, v35
	v_pack_b32_f16 v42, v42, v44
	v_pk_fma_f16 v44, v47, v40, v52
	v_pk_mul_f16 v48, v42, v38
	v_pk_fma_f16 v42, v46, v40, v50
	v_pk_fma_f16 v38, v46, v41, v34
	;; [unrolled: 1-line block ×5, first 2 shown]
	ds_write_b128 v127, v[34:37] offset:16
	ds_write_b128 v127, v[42:45]
	ds_write_b128 v127, v[38:41] offset:16
	s_clause 0x3
	buffer_load_dword v0, off, s[96:99], 0 offset:584
	buffer_load_dword v1, off, s[96:99], 0 offset:588
	;; [unrolled: 1-line block ×4, first 2 shown]
	s_waitcnt vmcnt(0)
	v_fma_f32 v0, v2, v0, v6
	s_clause 0x1
	buffer_load_dword v2, off, s[96:99], 0 offset:596
	buffer_load_dword v6, off, s[96:99], 0 offset:604
	s_waitcnt vmcnt(0)
	v_fma_f32 v1, v2, v1, v6
	buffer_store_dword v0, off, s[96:99], 0 offset:584 ; 4-byte Folded Spill
	buffer_store_dword v1, off, s[96:99], 0 offset:588 ; 4-byte Folded Spill
	s_clause 0x4
	buffer_load_dword v0, off, s[96:99], 0 offset:12
	buffer_load_dword v128, off, s[96:99], 0 offset:628
	;; [unrolled: 1-line block ×5, first 2 shown]
	v_mov_b32_e32 v2, v4
	v_mov_b32_e32 v6, v198
	;; [unrolled: 1-line block ×3, first 2 shown]
	s_clause 0x3
	buffer_load_dword v1, off, s[96:99], 0 offset:636
	buffer_load_dword v239, off, s[96:99], 0 offset:316
	;; [unrolled: 1-line block ×4, first 2 shown]
	s_waitcnt vmcnt(8)
	v_add_co_u32 v0, vcc_lo, v0, s4
	buffer_store_dword v0, off, s[96:99], 0 offset:12 ; 4-byte Folded Spill
	buffer_load_dword v0, off, s[96:99], 0 offset:16 ; 4-byte Folded Reload
	s_waitcnt vmcnt(0)
	v_add_co_ci_u32_e64 v0, null, 0, v0, vcc_lo
	buffer_store_dword v0, off, s[96:99], 0 offset:16 ; 4-byte Folded Spill
	buffer_load_dword v0, off, s[96:99], 0 offset:20 ; 4-byte Folded Reload
	v_add_co_u32 v124, vcc_lo, v124, s76
	v_add_co_ci_u32_e64 v128, null, s77, v128, vcc_lo
	s_waitcnt vmcnt(0)
	v_add_co_u32 v0, vcc_lo, v0, s76
	buffer_store_dword v0, off, s[96:99], 0 offset:20 ; 4-byte Folded Spill
	buffer_load_dword v0, off, s[96:99], 0 offset:24 ; 4-byte Folded Reload
	s_waitcnt vmcnt(0)
	v_add_co_ci_u32_e64 v0, null, s77, v0, vcc_lo
	buffer_store_dword v0, off, s[96:99], 0 offset:24 ; 4-byte Folded Spill
	buffer_load_dword v0, off, s[96:99], 0 offset:8 ; 4-byte Folded Reload
	s_waitcnt vmcnt(0)
	v_add_co_u32 v0, vcc_lo, v0, s76
	buffer_store_dword v0, off, s[96:99], 0 offset:8 ; 4-byte Folded Spill
	buffer_load_dword v0, off, s[96:99], 0 offset:4 ; 4-byte Folded Reload
	s_waitcnt vmcnt(0)
	v_add_co_ci_u32_e64 v0, null, s77, v0, vcc_lo
	v_add_co_u32 v132, vcc_lo, v10, s5
	v_add_co_ci_u32_e64 v126, null, 0, v126, vcc_lo
	buffer_store_dword v0, off, s[96:99], 0 offset:4 ; 4-byte Folded Spill
	buffer_load_dword v0, off, s[96:99], 0 offset:28 ; 4-byte Folded Reload
	v_add_co_u32 v135, vcc_lo, v135, s5
	v_add_co_ci_u32_e64 v252, null, 0, v252, vcc_lo
	v_add_co_u32 v174, vcc_lo, v174, s5
	v_add_co_ci_u32_e64 v11, null, 0, v11, vcc_lo
	buffer_store_dword v126, off, s[96:99], 0 offset:624 ; 4-byte Folded Spill
	buffer_store_dword v174, off, s[96:99], 0 offset:608 ; 4-byte Folded Spill
	buffer_load_dword v174, off, s[96:99], 0 offset:844 ; 4-byte Folded Reload
	buffer_store_dword v135, off, s[96:99], 0 offset:592 ; 4-byte Folded Spill
	buffer_store_dword v252, off, s[96:99], 0 offset:596 ; 4-byte Folded Spill
	;; [unrolled: 1-line block ×3, first 2 shown]
	v_mov_b32_e32 v252, v166
	s_waitcnt vmcnt(1)
	v_add_co_u32 v0, vcc_lo, v0, s4
	buffer_store_dword v0, off, s[96:99], 0 offset:28 ; 4-byte Folded Spill
	buffer_load_dword v0, off, s[96:99], 0 offset:32 ; 4-byte Folded Reload
	s_waitcnt vmcnt(0)
	v_add_co_ci_u32_e64 v0, null, 0, v0, vcc_lo
	v_add_co_u32 v174, vcc_lo, v174, s4
	buffer_store_dword v0, off, s[96:99], 0 offset:32 ; 4-byte Folded Spill
	buffer_load_dword v0, off, s[96:99], 0 offset:632 ; 4-byte Folded Reload
	s_waitcnt vmcnt(0)
	v_add_co_ci_u32_e64 v0, null, 0, v0, vcc_lo
	v_add_co_u32 v254, vcc_lo, v254, s5
	v_add_co_ci_u32_e64 v208, null, 0, v208, vcc_lo
	v_add_co_u32 v201, vcc_lo, v201, s5
	;; [unrolled: 2-line block ×50, first 2 shown]
	v_add_co_ci_u32_e64 v14, null, 0, v14, vcc_lo
	buffer_store_dword v233, off, s[96:99], 0 offset:600 ; 4-byte Folded Spill
	buffer_store_dword v76, off, s[96:99], 0 offset:604 ; 4-byte Folded Spill
	buffer_store_dword v129, off, s[96:99], 0 ; 4-byte Folded Spill
	buffer_store_dword v8, off, s[96:99], 0 offset:48 ; 4-byte Folded Spill
	buffer_store_dword v5, off, s[96:99], 0 offset:44 ; 4-byte Folded Spill
	;; [unrolled: 1-line block ×6, first 2 shown]
	v_mov_b32_e32 v233, v3
	s_clause 0x13
	buffer_load_dword v224, off, s[96:99], 0 offset:304
	buffer_load_dword v33, off, s[96:99], 0 offset:300
	;; [unrolled: 1-line block ×20, first 2 shown]
	v_mov_b32_e32 v14, v13
	s_clause 0x2a
	buffer_load_dword v13, off, s[96:99], 0 offset:228
	buffer_load_dword v11, off, s[96:99], 0 offset:208
	;; [unrolled: 1-line block ×43, first 2 shown]
	v_add_co_u32 v235, vcc_lo, v235, s5
	v_add_co_ci_u32_e64 v160, null, 0, v160, vcc_lo
	v_add_co_u32 v242, vcc_lo, v242, s5
	v_add_co_ci_u32_e64 v155, null, 0, v155, vcc_lo
	;; [unrolled: 2-line block ×6, first 2 shown]
	v_add_co_u32 v248, vcc_lo, v54, s5
	v_mov_b32_e32 v138, v171
	v_add_co_ci_u32_e64 v252, null, 0, v252, vcc_lo
	v_add_co_u32 v186, vcc_lo, v186, s5
	v_mov_b32_e32 v171, v183
	v_add_co_ci_u32_e64 v131, null, 0, v131, vcc_lo
	v_add_co_u32 v134, vcc_lo, v134, s5
	v_add_co_ci_u32_e64 v138, null, 0, v138, vcc_lo
	v_add_co_u32 v190, vcc_lo, v190, s5
	v_add_co_ci_u32_e64 v171, null, 0, v171, vcc_lo
	v_add_co_u32 v188, vcc_lo, v188, s5
	v_add_co_ci_u32_e64 v214, null, 0, v214, vcc_lo
	v_add_co_u32 v184, vcc_lo, v184, s5
	v_mov_b32_e32 v183, v196
	v_add_co_ci_u32_e64 v253, null, 0, v253, vcc_lo
	v_add_co_u32 v191, vcc_lo, v191, s5
	v_mov_b32_e32 v196, v194
	v_add_co_ci_u32_e64 v192, null, 0, v192, vcc_lo
	v_add_co_u32 v198, vcc_lo, v198, s5
	v_add_co_ci_u32_e64 v183, null, 0, v183, vcc_lo
	v_add_co_u32 v187, vcc_lo, v187, s5
	;; [unrolled: 2-line block ×3, first 2 shown]
	v_mov_b32_e32 v194, v199
	v_mov_b32_e32 v199, v200
	;; [unrolled: 1-line block ×4, first 2 shown]
	s_clause 0x1
	buffer_load_dword v54, off, s[96:99], 0 offset:1060
	buffer_load_dword v55, off, s[96:99], 0 offset:1064
	v_mov_b32_e32 v136, v180
	v_mov_b32_e32 v180, v204
	v_add_co_ci_u32_e64 v194, null, 0, v194, vcc_lo
	v_add_co_u32 v199, vcc_lo, v199, s5
	v_mov_b32_e32 v76, v202
	v_mov_b32_e32 v202, v205
	v_add_co_ci_u32_e64 v200, null, 0, v200, vcc_lo
	v_add_co_u32 v233, vcc_lo, v233, s5
	v_mov_b32_e32 v204, v72
	v_add_co_ci_u32_e64 v136, null, 0, v136, vcc_lo
	v_add_co_u32 v180, vcc_lo, v180, s5
	;; [unrolled: 3-line block ×4, first 2 shown]
	v_add_co_ci_u32_e64 v72, null, 0, v72, vcc_lo
	v_add_co_u32 v206, vcc_lo, v206, s5
	v_add_co_ci_u32_e64 v205, null, 0, v205, vcc_lo
	v_add_co_u32 v209, vcc_lo, v209, s5
	;; [unrolled: 2-line block ×3, first 2 shown]
	v_add_co_ci_u32_e64 v211, null, 0, v211, vcc_lo
	v_mov_b32_e32 v73, v78
	s_waitcnt vmcnt(27)
	v_add_co_u32 v215, vcc_lo, v215, s5
	s_waitcnt vmcnt(26)
	v_add_co_ci_u32_e64 v247, null, 0, v247, vcc_lo
	s_waitcnt vmcnt(25)
	v_add_co_u32 v212, vcc_lo, v212, s5
	s_waitcnt vmcnt(24)
	v_add_co_ci_u32_e64 v216, null, 0, v216, vcc_lo
	;; [unrolled: 4-line block ×3, first 2 shown]
	v_add_co_u32 v250, vcc_lo, v250, s5
	v_add_co_ci_u32_e64 v245, null, 0, v245, vcc_lo
	v_add_co_u32 v237, vcc_lo, v237, s5
	v_add_co_ci_u32_e64 v232, null, 0, v232, vcc_lo
	s_waitcnt vmcnt(21)
	v_add_co_u32 v35, vcc_lo, v35, s5
	s_waitcnt vmcnt(20)
	v_add_co_ci_u32_e64 v243, null, 0, v243, vcc_lo
	v_add_co_u32 v114, vcc_lo, v114, s5
	s_waitcnt vmcnt(19)
	v_add_co_ci_u32_e64 v36, null, 0, v36, vcc_lo
	s_waitcnt vmcnt(18)
	v_add_co_u32 v37, vcc_lo, v37, s5
	s_waitcnt vmcnt(17)
	v_add_co_ci_u32_e64 v41, null, 0, v41, vcc_lo
	s_waitcnt vmcnt(16)
	v_add_co_u32 v42, vcc_lo, v42, s5
	v_add_co_ci_u32_e64 v133, null, 0, v133, vcc_lo
	s_waitcnt vmcnt(15)
	v_add_co_u32 v43, vcc_lo, v43, s5
	s_waitcnt vmcnt(14)
	v_add_co_ci_u32_e64 v44, null, 0, v44, vcc_lo
	s_waitcnt vmcnt(13)
	v_add_co_u32 v51, vcc_lo, v51, s5
	v_add_co_ci_u32_e64 v219, null, 0, v219, vcc_lo
	s_waitcnt vmcnt(12)
	v_add_co_u32 v179, vcc_lo, v179, s5
	s_waitcnt vmcnt(11)
	v_add_co_ci_u32_e64 v45, null, 0, v45, vcc_lo
	s_waitcnt vmcnt(10)
	v_add_co_u32 v46, vcc_lo, v46, s5
	v_add_co_ci_u32_e64 v147, null, 0, v147, vcc_lo
	s_waitcnt vmcnt(9)
	v_add_co_u32 v47, vcc_lo, v47, s5
	v_add_co_ci_u32_e64 v231, null, 0, v231, vcc_lo
	v_add_co_u32 v148, vcc_lo, v148, s5
	v_add_co_ci_u32_e64 v152, null, 0, v152, vcc_lo
	s_waitcnt vmcnt(8)
	v_add_co_u32 v48, vcc_lo, v48, s5
	s_waitcnt vmcnt(7)
	v_add_co_ci_u32_e64 v222, null, 0, v222, vcc_lo
	s_waitcnt vmcnt(6)
	v_add_co_u32 v49, vcc_lo, v49, s5
	v_add_co_ci_u32_e64 v220, null, 0, v220, vcc_lo
	s_waitcnt vmcnt(5)
	v_add_co_u32 v50, vcc_lo, v50, s5
	v_add_co_ci_u32_e64 v130, null, 0, v130, vcc_lo
	v_add_co_u32 v225, vcc_lo, v225, s5
	v_add_co_ci_u32_e64 v137, null, 0, v137, vcc_lo
	s_waitcnt vmcnt(4)
	v_add_co_u32 v52, vcc_lo, v52, s5
	s_waitcnt vmcnt(3)
	v_add_co_ci_u32_e64 v53, null, 0, v53, vcc_lo
	v_add_co_u32 v227, vcc_lo, v227, s5
	v_add_co_ci_u32_e64 v228, null, 0, v228, vcc_lo
	v_add_co_u32 v141, vcc_lo, v141, s5
	;; [unrolled: 2-line block ×24, first 2 shown]
	s_waitcnt vmcnt(0)
	v_mov_b32_e32 v79, v55
	v_mov_b32_e32 v78, v54
	buffer_store_dword v54, off, s[96:99], 0 offset:616 ; 4-byte Folded Spill
	buffer_store_dword v55, off, s[96:99], 0 offset:620 ; 4-byte Folded Spill
	v_add_co_ci_u32_e64 v120, null, 0, v120, vcc_lo
	v_add_co_u32 v121, vcc_lo, v86, s5
	v_mov_b32_e32 v55, v208
	buffer_load_dword v249, off, s[96:99], 0 offset:624 ; 4-byte Folded Reload
	v_mov_b32_e32 v86, v80
	v_mov_b32_e32 v80, v105
	;; [unrolled: 1-line block ×12, first 2 shown]
	buffer_load_dword v253, off, s[96:99], 0 offset:8 ; 4-byte Folded Reload
	v_mov_b32_e32 v40, v243
	v_mov_b32_e32 v243, v252
	buffer_load_dword v252, off, s[96:99], 0 offset:4 ; 4-byte Folded Reload
	v_add_co_ci_u32_e64 v226, null, 0, v226, vcc_lo
	v_add_co_u32 v31, vcc_lo, v31, s5
	v_add_co_ci_u32_e64 v33, null, 0, v33, vcc_lo
	v_add_co_u32 v224, vcc_lo, v224, s5
	;; [unrolled: 2-line block ×7, first 2 shown]
	v_add_co_ci_u32_e64 v98, null, 0, v98, vcc_lo
	v_mov_b32_e32 v54, v254
	v_mov_b32_e32 v254, v132
	;; [unrolled: 1-line block ×4, first 2 shown]
	s_cbranch_scc1 .LBB28_30
.LBB28_22:                              ; =>This Inner Loop Header: Depth=1
	buffer_store_dword v190, off, s[96:99], 0 offset:924 ; 4-byte Folded Spill
	buffer_store_dword v171, off, s[96:99], 0 offset:920 ; 4-byte Folded Spill
	;; [unrolled: 1-line block ×132, first 2 shown]
	v_add_co_u32 v36, vcc_lo, v174, s3
	s_clause 0x1
	buffer_load_dword v2, off, s[96:99], 0 offset:56
	buffer_load_dword v2, off, s[96:99], 0 offset:52
	v_add_co_ci_u32_e64 v37, null, 0, v0, vcc_lo
	v_add_co_u32 v45, vcc_lo, v1, s3
	s_clause 0x1
	buffer_load_dword v2, off, s[96:99], 0 offset:40
	buffer_load_dword v2, off, s[96:99], 0 offset:36
	v_add_co_ci_u32_e64 v46, null, 0, v38, vcc_lo
	buffer_load_dword v2, off, s[96:99], 0 offset:44 ; 4-byte Folded Reload
	v_mov_b32_e32 v190, v138
	v_mov_b32_e32 v202, v150
	;; [unrolled: 1-line block ×3, first 2 shown]
	s_clause 0x2
	buffer_load_dword v2, off, s[96:99], 0 offset:48
	buffer_load_dword v150, off, s[96:99], 0
	buffer_load_dword v146, off, s[96:99], 0 offset:604
	v_mov_b32_e32 v78, v109
	v_mov_b32_e32 v138, v105
	buffer_load_dword v129, off, s[96:99], 0 offset:600 ; 4-byte Folded Reload
	v_mov_b32_e32 v109, v97
	v_mov_b32_e32 v105, v93
	;; [unrolled: 1-line block ×18, first 2 shown]
	s_clause 0x3
	buffer_load_dword v115, off, s[96:99], 0 offset:612
	buffer_load_dword v55, off, s[96:99], 0 offset:608
	;; [unrolled: 1-line block ×4, first 2 shown]
	buffer_store_dword v0, off, s[96:99], 0 offset:632 ; 4-byte Folded Spill
	s_clause 0x8
	global_load_dword v47, v[36:37], off offset:2
	global_load_dword v48, v[36:37], off offset:10
	;; [unrolled: 1-line block ×9, first 2 shown]
	buffer_store_dword v1, off, s[96:99], 0 offset:636 ; 4-byte Folded Spill
	buffer_store_dword v38, off, s[96:99], 0 offset:640 ; 4-byte Folded Spill
	v_mov_b32_e32 v72, v126
	global_load_dword v210, v[36:37], off offset:82
	s_clause 0x1
	global_load_ushort v39, v[45:46], off offset:-126
	global_load_ushort v40, v[45:46], off offset:-108
	s_clause 0x1
	global_load_dword v212, v[36:37], off offset:92
	global_load_dword v214, v[36:37], off offset:100
	s_clause 0x1
	global_load_ushort v43, v[45:46], off offset:-90
	global_load_ushort v41, v[45:46], off offset:-72
	s_clause 0x1
	global_load_dword v230, v[36:37], off offset:110
	;; [unrolled: 6-line block ×3, first 2 shown]
	global_load_dword v36, v[36:37], off offset:136
	s_clause 0x1
	global_load_ushort v38, v[45:46], off offset:-18
	global_load_ushort v37, v[45:46], off
	s_clause 0x2
	buffer_load_dword v126, off, s[96:99], 0 offset:1128
	buffer_load_dword v226, off, s[96:99], 0 offset:328
	;; [unrolled: 1-line block ×3, first 2 shown]
	v_mov_b32_e32 v167, v223
	v_mov_b32_e32 v45, 0
	;; [unrolled: 1-line block ×44, first 2 shown]
	s_waitcnt vmcnt(42)
	v_mov_b32_e32 v134, v249
	v_mov_b32_e32 v249, 0
	;; [unrolled: 1-line block ×8, first 2 shown]
	s_waitcnt vmcnt(40)
	v_mov_b32_e32 v132, v252
	v_mov_b32_e32 v251, 0
	;; [unrolled: 1-line block ×39, first 2 shown]
	s_andn2_b32 vcc_lo, exec_lo, s83
	s_waitcnt vmcnt(26)
	v_and_b32_e32 v225, 0xf0f0f0f, v47
	s_waitcnt vmcnt(25)
	v_and_b32_e32 v223, 0xf0f0f0f, v48
	;; [unrolled: 2-line block ×4, first 2 shown]
	v_lshrrev_b32_e32 v47, 4, v47
	v_lshrrev_b32_e32 v48, 4, v48
	;; [unrolled: 1-line block ×4, first 2 shown]
	s_waitcnt vmcnt(22)
	v_and_b32_e32 v215, 0xf0f0f0f, v51
	v_and_b32_e32 v229, 0xf0f0f0f, v47
	;; [unrolled: 1-line block ×3, first 2 shown]
	s_waitcnt vmcnt(21)
	v_and_b32_e32 v213, 0xf0f0f0f, v52
	v_lshrrev_b32_e32 v51, 4, v51
	s_waitcnt vmcnt(1)
	v_dot4c_i32_i8 v45, v225, v226
	s_waitcnt vmcnt(0)
	v_dot4c_i32_i8 v46, v223, v227
	s_clause 0x7
	buffer_load_dword v226, off, s[96:99], 0 offset:336
	buffer_load_dword v227, off, s[96:99], 0 offset:340
	;; [unrolled: 1-line block ×8, first 2 shown]
	v_cvt_f32_i32_e32 v45, v45
	v_cvt_f32_i32_e32 v46, v46
	v_lshrrev_b32_e32 v52, 4, v52
	v_and_b32_e32 v211, 0xf0f0f0f, v53
	v_and_b32_e32 v121, 0xf0f0f0f, v120
	v_lshrrev_b32_e32 v53, 4, v53
	v_lshrrev_b32_e32 v120, 4, v120
	v_and_b32_e32 v47, 0xf0f0f0f, v209
	v_and_b32_e32 v48, 0xf0f0f0f, v210
	v_lshrrev_b32_e32 v209, 4, v209
	v_lshrrev_b32_e32 v210, 4, v210
	s_waitcnt vmcnt(4)
	v_fma_f32 v45, v2, v45, -v3
	v_dot4c_i32_i8 v216, v229, v226
	s_waitcnt vmcnt(1)
	v_dot4c_i32_i8 v220, v219, v0
	s_waitcnt vmcnt(0)
	v_dot4c_i32_i8 v221, v218, v1
	s_clause 0x1
	buffer_load_dword v0, off, s[96:99], 0 offset:352
	buffer_load_dword v1, off, s[96:99], 0 offset:356
	v_dot4c_i32_i8 v217, v228, v227
	v_and_b32_e32 v227, 0xf0f0f0f, v49
	v_and_b32_e32 v226, 0xf0f0f0f, v50
	v_fma_f32 v46, v2, v46, -v3
	v_cvt_f32_i32_e32 v216, v216
	v_fma_mix_f32 v45, v45, v39, 0 op_sel_hi:[0,1,0]
	v_cvt_f32_i32_e32 v217, v217
	v_cvt_f32_i32_e32 v50, v221
	v_and_b32_e32 v221, 0xf0f0f0f, v53
	v_fma_f32 v216, v2, v216, -v3
	v_fma_mix_f32 v45, v46, v39, v45 op_sel_hi:[0,1,0]
	v_fma_f32 v49, v2, v217, -v3
	v_cvt_f32_i32_e32 v46, v220
	v_and_b32_e32 v220, 0xf0f0f0f, v120
	v_and_b32_e32 v217, 0xf0f0f0f, v209
	v_fma_mix_f32 v45, v216, v39, v45 op_sel_hi:[0,1,0]
	v_fma_f32 v46, v4, v46, -v5
	v_fma_mix_f32 v45, v49, v39, v45 op_sel_hi:[0,1,0]
	v_fma_f32 v49, v4, v50, -v5
	v_fma_mix_f32 v45, v46, v40, v45 op_sel_hi:[0,1,0]
	v_and_b32_e32 v46, 0xf0f0f0f, v212
	v_fma_mix_f32 v45, v49, v40, v45 op_sel_hi:[0,1,0]
	s_waitcnt vmcnt(1)
	v_dot4c_i32_i8 v222, v227, v0
	s_waitcnt vmcnt(0)
	v_dot4c_i32_i8 v224, v226, v1
	s_clause 0x1
	buffer_load_dword v0, off, s[96:99], 0 offset:360
	buffer_load_dword v1, off, s[96:99], 0 offset:364
	v_cvt_f32_i32_e32 v50, v222
	v_cvt_f32_i32_e32 v216, v224
	v_and_b32_e32 v224, 0xf0f0f0f, v51
	v_and_b32_e32 v222, 0xf0f0f0f, v52
	v_fma_f32 v50, v4, v50, -v5
	v_fma_f32 v51, v4, v216, -v5
	v_and_b32_e32 v216, 0xf0f0f0f, v210
	v_fma_mix_f32 v45, v50, v40, v45 op_sel_hi:[0,1,0]
	v_fma_mix_f32 v45, v51, v40, v45 op_sel_hi:[0,1,0]
	s_waitcnt vmcnt(1)
	v_dot4c_i32_i8 v233, v215, v0
	s_waitcnt vmcnt(0)
	v_dot4c_i32_i8 v234, v213, v1
	s_clause 0x5
	buffer_load_dword v0, off, s[96:99], 0 offset:368
	buffer_load_dword v1, off, s[96:99], 0 offset:372
	buffer_load_dword v6, off, s[96:99], 0 offset:1148
	buffer_load_dword v7, off, s[96:99], 0 offset:1152
	buffer_load_dword v8, off, s[96:99], 0 offset:1156
	buffer_load_dword v9, off, s[96:99], 0 offset:1160
	v_cvt_f32_i32_e32 v49, v233
	v_cvt_f32_i32_e32 v50, v234
	v_mov_b32_e32 v234, v126
	s_waitcnt vmcnt(2)
	v_fma_f32 v52, v6, v49, -v7
	v_dot4c_i32_i8 v235, v224, v0
	v_dot4c_i32_i8 v236, v222, v1
	s_clause 0x1
	buffer_load_dword v0, off, s[96:99], 0 offset:376
	buffer_load_dword v1, off, s[96:99], 0 offset:380
	v_and_b32_e32 v49, 0xf0f0f0f, v214
	v_fma_f32 v50, v6, v50, -v7
	v_cvt_f32_i32_e32 v51, v235
	v_fma_mix_f32 v45, v52, v43, v45 op_sel_hi:[0,1,0]
	v_lshrrev_b32_e32 v52, 4, v212
	v_cvt_f32_i32_e32 v212, v236
	v_fma_f32 v51, v6, v51, -v7
	v_fma_mix_f32 v45, v50, v43, v45 op_sel_hi:[0,1,0]
	v_fma_f32 v53, v6, v212, -v7
	v_fma_mix_f32 v45, v51, v43, v45 op_sel_hi:[0,1,0]
	v_fma_mix_f32 v45, v53, v43, v45 op_sel_hi:[0,1,0]
	v_lshrrev_b32_e32 v53, 4, v214
	v_and_b32_e32 v214, 0xf0f0f0f, v52
	s_waitcnt vmcnt(1)
	v_dot4c_i32_i8 v237, v211, v0
	s_waitcnt vmcnt(0)
	v_dot4c_i32_i8 v238, v121, v1
	s_clause 0x1
	buffer_load_dword v0, off, s[96:99], 0 offset:384
	buffer_load_dword v1, off, s[96:99], 0 offset:388
	v_cvt_f32_i32_e32 v50, v237
	v_cvt_f32_i32_e32 v51, v238
	v_fma_f32 v50, v8, v50, -v9
	v_fma_f32 v120, v8, v51, -v9
	v_and_b32_e32 v51, 0xf0f0f0f, v230
	v_fma_mix_f32 v45, v50, v41, v45 op_sel_hi:[0,1,0]
	v_fma_mix_f32 v45, v120, v41, v45 op_sel_hi:[0,1,0]
	s_waitcnt vmcnt(1)
	v_dot4c_i32_i8 v239, v221, v0
	s_waitcnt vmcnt(0)
	v_dot4c_i32_i8 v240, v220, v1
	s_clause 0x1
	buffer_load_dword v0, off, s[96:99], 0 offset:392
	buffer_load_dword v1, off, s[96:99], 0 offset:396
	v_cvt_f32_i32_e32 v212, v239
	v_cvt_f32_i32_e32 v50, v240
	v_fma_f32 v212, v8, v212, -v9
	v_fma_f32 v50, v8, v50, -v9
	v_fma_mix_f32 v45, v212, v41, v45 op_sel_hi:[0,1,0]
	v_fma_mix_f32 v45, v50, v41, v45 op_sel_hi:[0,1,0]
	v_and_b32_e32 v50, 0xf0f0f0f, v231
	s_waitcnt vmcnt(1)
	v_dot4c_i32_i8 v241, v47, v0
	s_waitcnt vmcnt(0)
	v_dot4c_i32_i8 v242, v48, v1
	s_clause 0x5
	buffer_load_dword v0, off, s[96:99], 0 offset:400
	buffer_load_dword v1, off, s[96:99], 0 offset:404
	;; [unrolled: 1-line block ×6, first 2 shown]
	v_cvt_f32_i32_e32 v120, v241
	v_cvt_f32_i32_e32 v209, v242
	s_waitcnt vmcnt(2)
	v_fma_f32 v120, v10, v120, -v11
	v_dot4c_i32_i8 v243, v217, v0
	v_dot4c_i32_i8 v244, v216, v1
	s_clause 0x1
	buffer_load_dword v0, off, s[96:99], 0 offset:408
	buffer_load_dword v1, off, s[96:99], 0 offset:412
	v_fma_f32 v209, v10, v209, -v11
	v_fma_mix_f32 v45, v120, v44, v45 op_sel_hi:[0,1,0]
	v_cvt_f32_i32_e32 v210, v243
	v_cvt_f32_i32_e32 v212, v244
	v_lshrrev_b32_e32 v120, 4, v230
	v_fma_mix_f32 v45, v209, v44, v45 op_sel_hi:[0,1,0]
	v_fma_f32 v210, v10, v210, -v11
	v_fma_f32 v209, v10, v212, -v11
	v_and_b32_e32 v212, 0xf0f0f0f, v53
	v_fma_mix_f32 v45, v210, v44, v45 op_sel_hi:[0,1,0]
	v_lshrrev_b32_e32 v210, 4, v231
	v_fma_mix_f32 v45, v209, v44, v45 op_sel_hi:[0,1,0]
	v_and_b32_e32 v210, 0xf0f0f0f, v210
	s_waitcnt vmcnt(1)
	v_dot4c_i32_i8 v245, v46, v0
	s_waitcnt vmcnt(0)
	v_dot4c_i32_i8 v246, v49, v1
	s_clause 0x1
	buffer_load_dword v0, off, s[96:99], 0 offset:416
	buffer_load_dword v1, off, s[96:99], 0 offset:420
	v_cvt_f32_i32_e32 v52, v245
	v_cvt_f32_i32_e32 v53, v246
	v_fma_f32 v52, v12, v52, -v13
	v_fma_f32 v53, v12, v53, -v13
	v_fma_mix_f32 v52, v52, v42, v45 op_sel_hi:[0,1,0]
	v_and_b32_e32 v45, 0xf0f0f0f, v232
	v_fma_mix_f32 v52, v53, v42, v52 op_sel_hi:[0,1,0]
	s_waitcnt vmcnt(1)
	v_dot4c_i32_i8 v247, v214, v0
	s_waitcnt vmcnt(0)
	v_dot4c_i32_i8 v248, v212, v1
	s_clause 0x1
	buffer_load_dword v0, off, s[96:99], 0 offset:424
	buffer_load_dword v1, off, s[96:99], 0 offset:428
	v_cvt_f32_i32_e32 v209, v247
	v_cvt_f32_i32_e32 v230, v248
	v_fma_f32 v231, v12, v209, -v13
	v_and_b32_e32 v209, 0xf0f0f0f, v120
	v_fma_f32 v120, v12, v230, -v13
	v_fma_mix_f32 v52, v231, v42, v52 op_sel_hi:[0,1,0]
	v_fma_mix_f32 v52, v120, v42, v52 op_sel_hi:[0,1,0]
	s_waitcnt vmcnt(1)
	v_dot4c_i32_i8 v249, v51, v0
	s_waitcnt vmcnt(0)
	v_dot4c_i32_i8 v250, v50, v1
	s_clause 0x5
	buffer_load_dword v0, off, s[96:99], 0 offset:432
	buffer_load_dword v1, off, s[96:99], 0 offset:436
	;; [unrolled: 1-line block ×6, first 2 shown]
	v_cvt_f32_i32_e32 v53, v249
	v_cvt_f32_i32_e32 v230, v250
	s_waitcnt vmcnt(2)
	v_fma_f32 v231, v14, v53, -v15
	v_dot4c_i32_i8 v251, v209, v0
	v_dot4c_i32_i8 v252, v210, v1
	s_clause 0x1
	buffer_load_dword v0, off, s[96:99], 0 offset:440
	buffer_load_dword v1, off, s[96:99], 0 offset:444
	v_and_b32_e32 v53, 0xf0f0f0f, v36
	v_fma_f32 v120, v14, v230, -v15
	v_cvt_f32_i32_e32 v230, v251
	v_fma_mix_f32 v52, v231, v38, v52 op_sel_hi:[0,1,0]
	v_lshrrev_b32_e32 v231, 4, v232
	v_cvt_f32_i32_e32 v232, v252
	v_lshrrev_b32_e32 v36, 4, v36
	v_fma_f32 v230, v14, v230, -v15
	v_fma_mix_f32 v52, v120, v38, v52 op_sel_hi:[0,1,0]
	v_and_b32_e32 v120, 0xf0f0f0f, v231
	v_fma_f32 v232, v14, v232, -v15
	v_fma_mix_f32 v230, v230, v38, v52 op_sel_hi:[0,1,0]
	v_and_b32_e32 v52, 0xf0f0f0f, v36
	v_fma_mix_f32 v230, v232, v38, v230 op_sel_hi:[0,1,0]
	s_waitcnt vmcnt(1)
	v_dot4c_i32_i8 v253, v45, v0
	s_waitcnt vmcnt(0)
	v_dot4c_i32_i8 v254, v53, v1
	s_clause 0x1
	buffer_load_dword v0, off, s[96:99], 0 offset:448
	buffer_load_dword v1, off, s[96:99], 0 offset:452
	v_cvt_f32_i32_e32 v233, v253
	v_cvt_f32_i32_e32 v36, v254
	v_fma_f32 v231, v16, v233, -v17
	v_fma_f32 v36, v16, v36, -v17
	v_fma_mix_f32 v230, v231, v37, v230 op_sel_hi:[0,1,0]
	v_fma_mix_f32 v36, v36, v37, v230 op_sel_hi:[0,1,0]
	s_waitcnt vmcnt(1)
	v_dot4c_i32_i8 v255, v120, v0
	s_waitcnt vmcnt(0)
	v_dot4c_i32_i8 v123, v52, v1
	v_cvt_f32_i32_e32 v231, v255
	v_cvt_f32_i32_e32 v123, v123
	v_fma_f32 v230, v16, v231, -v17
	v_fma_f32 v123, v16, v123, -v17
	v_fma_mix_f32 v36, v230, v37, v36 op_sel_hi:[0,1,0]
	v_fma_mix_f32 v36, v123, v37, v36 op_sel_hi:[0,1,0]
	ds_bpermute_b32 v123, v126, v36
	s_waitcnt lgkmcnt(0)
	v_add_f32_e32 v36, v36, v123
	s_cbranch_vccnz .LBB28_24
; %bb.23:                               ;   in Loop: Header=BB28_22 Depth=1
	s_clause 0x1
	buffer_load_dword v0, off, s[96:99], 0 offset:20
	buffer_load_dword v122, off, s[96:99], 0 offset:324
	s_waitcnt vmcnt(1)
	v_add_co_u32 v230, vcc_lo, v0, s65
	buffer_load_dword v0, off, s[96:99], 0 offset:24 ; 4-byte Folded Reload
	s_waitcnt vmcnt(0)
	v_add_co_ci_u32_e64 v231, null, s67, v0, vcc_lo
	global_load_ushort v123, v[230:231], off offset:-2
	s_waitcnt vmcnt(0)
	v_fma_mix_f32 v36, v122, v123, v36 op_sel_hi:[0,1,0]
.LBB28_24:                              ;   in Loop: Header=BB28_22 Depth=1
	s_clause 0x11
	buffer_load_dword v18, off, s[96:99], 0 offset:1196
	buffer_load_dword v19, off, s[96:99], 0 offset:1200
	;; [unrolled: 1-line block ×18, first 2 shown]
	v_mov_b32_e32 v123, 0
	v_mov_b32_e32 v230, 0
	v_cvt_f32_f16_e32 v39, v39
	v_cvt_f32_f16_e32 v40, v40
	;; [unrolled: 1-line block ×8, first 2 shown]
	s_andn2_b32 vcc_lo, exec_lo, s85
	s_waitcnt vmcnt(1)
	v_dot4c_i32_i8 v123, v225, v0
	s_waitcnt vmcnt(0)
	v_dot4c_i32_i8 v230, v223, v1
	s_clause 0x1
	buffer_load_dword v0, off, s[96:99], 0 offset:464
	buffer_load_dword v1, off, s[96:99], 0 offset:468
	v_mov_b32_e32 v225, 0
	v_mov_b32_e32 v223, 0
	v_cvt_f32_i32_e32 v123, v123
	v_fma_f32 v123, v18, v123, -v19
	v_fma_f32 v123, v123, v39, 0
	s_waitcnt vmcnt(1)
	v_dot4c_i32_i8 v225, v229, v0
	s_waitcnt vmcnt(0)
	v_dot4c_i32_i8 v223, v228, v1
	s_clause 0x1
	buffer_load_dword v0, off, s[96:99], 0 offset:472
	buffer_load_dword v1, off, s[96:99], 0 offset:476
	v_cvt_f32_i32_e32 v229, v230
	v_mov_b32_e32 v230, 0
	v_cvt_f32_i32_e32 v225, v225
	v_fma_f32 v228, v18, v229, -v19
	v_mov_b32_e32 v229, 0
	v_fmac_f32_e32 v123, v228, v39
	s_waitcnt vmcnt(1)
	v_dot4c_i32_i8 v230, v219, v0
	s_waitcnt vmcnt(0)
	v_dot4c_i32_i8 v229, v218, v1
	s_clause 0x1
	buffer_load_dword v0, off, s[96:99], 0 offset:480
	buffer_load_dword v1, off, s[96:99], 0 offset:484
	v_cvt_f32_i32_e32 v219, v223
	v_fma_f32 v223, v18, v225, -v19
	v_mov_b32_e32 v225, 0
	v_cvt_f32_i32_e32 v218, v230
	v_fma_f32 v219, v18, v219, -v19
	v_fmac_f32_e32 v123, v223, v39
	v_mov_b32_e32 v223, 0
	v_fma_f32 v218, v20, v218, -v21
	v_fmac_f32_e32 v123, v219, v39
	v_mov_b32_e32 v39, 0
	v_fmac_f32_e32 v123, v218, v40
	v_mov_b32_e32 v218, 0
	s_waitcnt vmcnt(1)
	v_dot4c_i32_i8 v225, v227, v0
	s_waitcnt vmcnt(0)
	v_dot4c_i32_i8 v223, v226, v1
	s_clause 0x1
	buffer_load_dword v0, off, s[96:99], 0 offset:488
	buffer_load_dword v1, off, s[96:99], 0 offset:492
	v_cvt_f32_i32_e32 v227, v229
	v_cvt_f32_i32_e32 v219, v225
	v_fma_f32 v225, v20, v227, -v21
	v_fma_f32 v219, v20, v219, -v21
	v_fmac_f32_e32 v123, v225, v40
	v_fmac_f32_e32 v123, v219, v40
	s_waitcnt vmcnt(1)
	v_dot4c_i32_i8 v39, v215, v0
	s_waitcnt vmcnt(0)
	v_dot4c_i32_i8 v218, v213, v1
	s_clause 0x1
	buffer_load_dword v0, off, s[96:99], 0 offset:496
	buffer_load_dword v1, off, s[96:99], 0 offset:500
	v_cvt_f32_i32_e32 v215, v223
	v_mov_b32_e32 v223, 0
	v_cvt_f32_i32_e32 v39, v39
	v_cvt_f32_i32_e32 v218, v218
	v_fma_f32 v213, v20, v215, -v21
	v_mov_b32_e32 v215, 0
	v_fma_f32 v39, v22, v39, -v23
	v_fma_f32 v218, v22, v218, -v23
	v_fmac_f32_e32 v123, v213, v40
	v_mov_b32_e32 v40, 0
	v_fmac_f32_e32 v123, v39, v43
	v_mov_b32_e32 v39, 0
	v_fmac_f32_e32 v123, v218, v43
	s_waitcnt vmcnt(1)
	v_dot4c_i32_i8 v223, v224, v0
	s_waitcnt vmcnt(0)
	v_dot4c_i32_i8 v215, v222, v1
	s_clause 0x1
	buffer_load_dword v0, off, s[96:99], 0 offset:504
	buffer_load_dword v1, off, s[96:99], 0 offset:508
	v_cvt_f32_i32_e32 v213, v223
	v_fma_f32 v213, v22, v213, -v23
	v_fmac_f32_e32 v123, v213, v43
	s_waitcnt vmcnt(1)
	v_dot4c_i32_i8 v40, v211, v0
	s_waitcnt vmcnt(0)
	v_dot4c_i32_i8 v39, v121, v1
	s_clause 0x1
	buffer_load_dword v0, off, s[96:99], 0 offset:512
	buffer_load_dword v1, off, s[96:99], 0 offset:516
	v_cvt_f32_i32_e32 v211, v215
	v_mov_b32_e32 v215, 0
	v_cvt_f32_i32_e32 v40, v40
	v_cvt_f32_i32_e32 v39, v39
	v_fma_f32 v121, v22, v211, -v23
	v_mov_b32_e32 v211, 0
	v_fma_f32 v40, v24, v40, -v25
	v_fma_f32 v39, v24, v39, -v25
	v_fmac_f32_e32 v123, v121, v43
	v_mov_b32_e32 v43, 0
	v_fmac_f32_e32 v123, v40, v41
	v_mov_b32_e32 v40, 0
	;; [unrolled: 2-line block ×3, first 2 shown]
	s_waitcnt vmcnt(1)
	v_dot4c_i32_i8 v215, v221, v0
	s_waitcnt vmcnt(0)
	v_dot4c_i32_i8 v211, v220, v1
	s_clause 0x1
	buffer_load_dword v0, off, s[96:99], 0 offset:520
	buffer_load_dword v1, off, s[96:99], 0 offset:524
	v_cvt_f32_i32_e32 v121, v215
	v_fma_f32 v121, v24, v121, -v25
	v_fmac_f32_e32 v123, v121, v41
	s_waitcnt vmcnt(1)
	v_dot4c_i32_i8 v43, v47, v0
	s_waitcnt vmcnt(0)
	v_dot4c_i32_i8 v40, v48, v1
	s_clause 0x1
	buffer_load_dword v0, off, s[96:99], 0 offset:528
	buffer_load_dword v1, off, s[96:99], 0 offset:532
	v_mov_b32_e32 v48, 0
	v_cvt_f32_i32_e32 v47, v211
	v_cvt_f32_i32_e32 v43, v43
	;; [unrolled: 1-line block ×3, first 2 shown]
	v_fma_f32 v47, v24, v47, -v25
	v_fma_f32 v43, v26, v43, -v27
	;; [unrolled: 1-line block ×3, first 2 shown]
	v_fmac_f32_e32 v123, v47, v41
	v_mov_b32_e32 v41, 0
	v_fmac_f32_e32 v123, v43, v44
	v_mov_b32_e32 v43, 0
	;; [unrolled: 2-line block ×3, first 2 shown]
	s_waitcnt vmcnt(1)
	v_dot4c_i32_i8 v39, v217, v0
	s_waitcnt vmcnt(0)
	v_dot4c_i32_i8 v48, v216, v1
	s_clause 0x1
	buffer_load_dword v0, off, s[96:99], 0 offset:536
	buffer_load_dword v1, off, s[96:99], 0 offset:540
	v_cvt_f32_i32_e32 v39, v39
	v_fma_f32 v39, v26, v39, -v27
	v_fmac_f32_e32 v123, v39, v44
	s_waitcnt vmcnt(1)
	v_dot4c_i32_i8 v41, v46, v0
	s_waitcnt vmcnt(0)
	v_dot4c_i32_i8 v43, v49, v1
	s_clause 0x1
	buffer_load_dword v0, off, s[96:99], 0 offset:544
	buffer_load_dword v1, off, s[96:99], 0 offset:548
	v_cvt_f32_i32_e32 v46, v48
	v_cvt_f32_i32_e32 v41, v41
	;; [unrolled: 1-line block ×3, first 2 shown]
	v_mov_b32_e32 v43, 0
	v_fma_f32 v46, v26, v46, -v27
	v_fma_f32 v41, v28, v41, -v29
	;; [unrolled: 1-line block ×3, first 2 shown]
	v_fmac_f32_e32 v123, v46, v44
	v_mov_b32_e32 v44, 0
	v_fmac_f32_e32 v123, v41, v42
	v_mov_b32_e32 v41, 0
	v_fmac_f32_e32 v123, v39, v42
	s_waitcnt vmcnt(1)
	v_dot4c_i32_i8 v40, v214, v0
	s_waitcnt vmcnt(0)
	v_dot4c_i32_i8 v43, v212, v1
	s_clause 0x1
	buffer_load_dword v0, off, s[96:99], 0 offset:552
	buffer_load_dword v1, off, s[96:99], 0 offset:556
	v_cvt_f32_i32_e32 v40, v40
	v_cvt_f32_i32_e32 v39, v43
	v_fma_f32 v40, v28, v40, -v29
	v_fma_f32 v39, v28, v39, -v29
	v_fmac_f32_e32 v123, v40, v42
	v_fmac_f32_e32 v123, v39, v42
	v_mov_b32_e32 v42, 0
	s_waitcnt vmcnt(1)
	v_dot4c_i32_i8 v44, v51, v0
	s_waitcnt vmcnt(0)
	v_dot4c_i32_i8 v41, v50, v1
	s_clause 0x1
	buffer_load_dword v0, off, s[96:99], 0 offset:560
	buffer_load_dword v1, off, s[96:99], 0 offset:564
	v_cvt_f32_i32_e32 v43, v44
	v_mov_b32_e32 v44, 0
	v_cvt_f32_i32_e32 v41, v41
	v_fma_f32 v40, v30, v43, -v31
	v_mov_b32_e32 v43, 0
	v_fma_f32 v41, v30, v41, -v31
	v_fmac_f32_e32 v123, v40, v38
	v_mov_b32_e32 v40, 0
	v_fmac_f32_e32 v123, v41, v38
	v_mov_b32_e32 v41, 0
	s_waitcnt vmcnt(1)
	v_dot4c_i32_i8 v44, v209, v0
	s_waitcnt vmcnt(0)
	v_dot4c_i32_i8 v43, v210, v1
	s_clause 0x1
	buffer_load_dword v0, off, s[96:99], 0 offset:568
	buffer_load_dword v1, off, s[96:99], 0 offset:572
	v_cvt_f32_i32_e32 v39, v44
	v_cvt_f32_i32_e32 v43, v43
	v_fma_f32 v39, v30, v39, -v31
	v_fma_f32 v43, v30, v43, -v31
	v_fmac_f32_e32 v123, v39, v38
	v_fmac_f32_e32 v123, v43, v38
	s_waitcnt vmcnt(1)
	v_dot4c_i32_i8 v40, v45, v0
	s_waitcnt vmcnt(0)
	v_dot4c_i32_i8 v42, v53, v1
	s_clause 0x1
	buffer_load_dword v0, off, s[96:99], 0 offset:576
	buffer_load_dword v1, off, s[96:99], 0 offset:580
	buffer_store_dword v124, off, s[96:99], 0 offset:624 ; 4-byte Folded Spill
	buffer_store_dword v128, off, s[96:99], 0 offset:628 ; 4-byte Folded Spill
	v_cvt_f32_i32_e32 v39, v40
	v_cvt_f32_i32_e32 v40, v42
	v_fma_f32 v38, v32, v39, -v33
	v_mov_b32_e32 v39, 0
	v_fma_f32 v40, v32, v40, -v33
	v_fmac_f32_e32 v123, v38, v37
	v_fmac_f32_e32 v123, v40, v37
	s_waitcnt vmcnt(1)
	v_dot4c_i32_i8 v41, v120, v0
	s_waitcnt vmcnt(0)
	v_dot4c_i32_i8 v39, v52, v1
	v_cvt_f32_i32_e32 v41, v41
	v_cvt_f32_i32_e32 v39, v39
	v_fma_f32 v38, v32, v41, -v33
	v_fmac_f32_e32 v123, v38, v37
	v_fma_f32 v38, v32, v39, -v33
	v_fmac_f32_e32 v123, v38, v37
	ds_bpermute_b32 v37, v234, v123
	s_waitcnt lgkmcnt(0)
	v_add_f32_e32 v37, v123, v37
	s_cbranch_vccnz .LBB28_26
; %bb.25:                               ;   in Loop: Header=BB28_22 Depth=1
	v_add_co_u32 v38, vcc_lo, v124, s65
	v_add_co_ci_u32_e64 v39, null, s67, v128, vcc_lo
	global_load_ushort v38, v[38:39], off
	buffer_load_dword v39, off, s[96:99], 0 offset:324 ; 4-byte Folded Reload
	s_waitcnt vmcnt(0)
	v_fma_mix_f32 v37, v39, v38, v37 op_sel_hi:[0,1,0]
.LBB28_26:                              ;   in Loop: Header=BB28_22 Depth=1
	buffer_load_dword v0, off, s[96:99], 0 offset:12 ; 4-byte Folded Reload
	v_mov_b32_e32 v216, 0
	v_mov_b32_e32 v218, 0
	;; [unrolled: 1-line block ×30, first 2 shown]
	s_waitcnt vmcnt(0)
	v_add_co_u32 v38, vcc_lo, v0, s3
	buffer_load_dword v0, off, s[96:99], 0 offset:16 ; 4-byte Folded Reload
	s_waitcnt vmcnt(0)
	v_add_co_ci_u32_e64 v39, null, 0, v0, vcc_lo
	s_clause 0x8
	global_load_dword v42, v[38:39], off offset:2
	global_load_dword v49, v[38:39], off offset:10
	;; [unrolled: 1-line block ×9, first 2 shown]
	buffer_load_dword v0, off, s[96:99], 0 offset:28 ; 4-byte Folded Reload
	s_waitcnt vmcnt(9)
	v_and_b32_e32 v226, 0xf0f0f0f, v42
	s_waitcnt vmcnt(8)
	v_and_b32_e32 v224, 0xf0f0f0f, v49
	v_lshrrev_b32_e32 v227, 4, v49
	s_waitcnt vmcnt(7)
	v_and_b32_e32 v220, 0xf0f0f0f, v50
	v_lshrrev_b32_e32 v228, 4, v50
	v_lshrrev_b32_e32 v42, 4, v42
	s_waitcnt vmcnt(6)
	v_and_b32_e32 v221, 0xf0f0f0f, v51
	v_and_b32_e32 v230, 0xf0f0f0f, v227
	v_lshrrev_b32_e32 v51, 4, v51
	s_waitcnt vmcnt(0)
	v_add_co_u32 v47, vcc_lo, v0, s3
	buffer_load_dword v0, off, s[96:99], 0 offset:32 ; 4-byte Folded Reload
	v_and_b32_e32 v231, 0xf0f0f0f, v42
	v_and_b32_e32 v229, 0xf0f0f0f, v228
	;; [unrolled: 1-line block ×5, first 2 shown]
	v_lshrrev_b32_e32 v52, 4, v52
	v_lshrrev_b32_e32 v53, 4, v53
	v_and_b32_e32 v213, 0xf0f0f0f, v120
	v_and_b32_e32 v210, 0xf0f0f0f, v121
	v_lshrrev_b32_e32 v120, 4, v120
	v_and_b32_e32 v227, 0xf0f0f0f, v52
	v_lshrrev_b32_e32 v121, 4, v121
	s_waitcnt vmcnt(0)
	v_add_co_ci_u32_e64 v48, null, 0, v0, vcc_lo
	global_load_dword v209, v[38:39], off offset:82
	s_clause 0x1
	global_load_ushort v40, v[47:48], off
	global_load_ushort v41, v[47:48], off offset:18
	s_clause 0x1
	global_load_dword v211, v[38:39], off offset:92
	global_load_dword v212, v[38:39], off offset:100
	s_clause 0x1
	global_load_ushort v45, v[47:48], off offset:36
	global_load_ushort v43, v[47:48], off offset:54
	s_clause 0x1
	global_load_dword v214, v[38:39], off offset:110
	global_load_dword v232, v[38:39], off offset:118
	s_clause 0x1
	global_load_ushort v46, v[47:48], off offset:72
	;; [unrolled: 6-line block ×3, first 2 shown]
	global_load_ushort v38, v[47:48], off offset:126
	s_clause 0x3
	buffer_load_dword v49, off, s[96:99], 0 offset:328
	buffer_load_dword v50, off, s[96:99], 0 offset:332
	;; [unrolled: 1-line block ×4, first 2 shown]
	v_mov_b32_e32 v47, 0
	v_mov_b32_e32 v48, 0
	s_andn2_b32 vcc_lo, exec_lo, s83
	s_waitcnt vmcnt(3)
	v_dot4c_i32_i8 v47, v226, v49
	s_waitcnt vmcnt(1)
	v_dot4c_i32_i8 v216, v231, v0
	;; [unrolled: 2-line block ×3, first 2 shown]
	s_clause 0x1
	buffer_load_dword v0, off, s[96:99], 0 offset:344
	buffer_load_dword v1, off, s[96:99], 0 offset:348
	v_dot4c_i32_i8 v48, v224, v50
	v_cvt_f32_i32_e32 v42, v47
	v_and_b32_e32 v49, 0xf0f0f0f, v123
	v_and_b32_e32 v50, 0xf0f0f0f, v209
	v_lshrrev_b32_e32 v123, 4, v123
	v_cvt_f32_i32_e32 v47, v48
	v_fma_f32 v42, v2, v42, -v3
	v_cvt_f32_i32_e32 v48, v216
	v_cvt_f32_i32_e32 v216, v218
	v_lshrrev_b32_e32 v209, 4, v209
	v_fma_f32 v47, v2, v47, -v3
	v_fma_mix_f32 v42, v42, v40, 0 op_sel_hi:[0,1,0]
	v_fma_f32 v48, v2, v48, -v3
	v_fma_f32 v216, v2, v216, -v3
	v_and_b32_e32 v218, 0xf0f0f0f, v209
	v_fma_mix_f32 v42, v47, v40, v42 op_sel_hi:[0,1,0]
	v_fma_mix_f32 v42, v48, v40, v42 op_sel_hi:[0,1,0]
	;; [unrolled: 1-line block ×3, first 2 shown]
	s_waitcnt vmcnt(1)
	v_dot4c_i32_i8 v219, v220, v0
	s_waitcnt vmcnt(0)
	v_dot4c_i32_i8 v222, v221, v1
	s_clause 0x1
	buffer_load_dword v0, off, s[96:99], 0 offset:352
	buffer_load_dword v1, off, s[96:99], 0 offset:356
	v_cvt_f32_i32_e32 v47, v219
	v_cvt_f32_i32_e32 v48, v222
	v_and_b32_e32 v222, 0xf0f0f0f, v121
	v_and_b32_e32 v219, 0xf0f0f0f, v123
	v_fma_f32 v47, v4, v47, -v5
	v_fma_f32 v51, v4, v48, -v5
	v_and_b32_e32 v48, 0xf0f0f0f, v211
	v_lshrrev_b32_e32 v211, 4, v211
	v_fma_mix_f32 v42, v47, v41, v42 op_sel_hi:[0,1,0]
	v_fma_mix_f32 v42, v51, v41, v42 op_sel_hi:[0,1,0]
	s_waitcnt vmcnt(1)
	v_dot4c_i32_i8 v223, v229, v0
	s_waitcnt vmcnt(0)
	v_dot4c_i32_i8 v225, v228, v1
	s_clause 0x1
	buffer_load_dword v0, off, s[96:99], 0 offset:360
	buffer_load_dword v1, off, s[96:99], 0 offset:364
	v_cvt_f32_i32_e32 v216, v223
	v_cvt_f32_i32_e32 v47, v225
	v_and_b32_e32 v225, 0xf0f0f0f, v53
	v_and_b32_e32 v223, 0xf0f0f0f, v120
	v_lshrrev_b32_e32 v120, 4, v212
	v_fma_f32 v216, v4, v216, -v5
	v_fma_f32 v47, v4, v47, -v5
	v_fma_mix_f32 v42, v216, v41, v42 op_sel_hi:[0,1,0]
	v_and_b32_e32 v216, 0xf0f0f0f, v211
	v_fma_mix_f32 v42, v47, v41, v42 op_sel_hi:[0,1,0]
	s_waitcnt vmcnt(1)
	v_dot4c_i32_i8 v235, v217, v0
	s_waitcnt vmcnt(0)
	v_dot4c_i32_i8 v236, v215, v1
	s_clause 0x1
	buffer_load_dword v0, off, s[96:99], 0 offset:368
	buffer_load_dword v1, off, s[96:99], 0 offset:372
	v_cvt_f32_i32_e32 v51, v235
	v_cvt_f32_i32_e32 v52, v236
	v_fma_f32 v53, v6, v51, -v7
	v_and_b32_e32 v51, 0xf0f0f0f, v212
	v_fma_f32 v47, v6, v52, -v7
	v_fma_mix_f32 v42, v53, v45, v42 op_sel_hi:[0,1,0]
	v_fma_mix_f32 v42, v47, v45, v42 op_sel_hi:[0,1,0]
	s_waitcnt vmcnt(1)
	v_dot4c_i32_i8 v237, v227, v0
	s_waitcnt vmcnt(0)
	v_dot4c_i32_i8 v238, v225, v1
	s_clause 0x1
	buffer_load_dword v0, off, s[96:99], 0 offset:376
	buffer_load_dword v1, off, s[96:99], 0 offset:380
	v_cvt_f32_i32_e32 v52, v237
	v_cvt_f32_i32_e32 v53, v238
	v_fma_f32 v52, v6, v52, -v7
	v_fma_f32 v53, v6, v53, -v7
	v_fma_mix_f32 v42, v52, v45, v42 op_sel_hi:[0,1,0]
	v_fma_mix_f32 v42, v53, v45, v42 op_sel_hi:[0,1,0]
	v_and_b32_e32 v53, 0xf0f0f0f, v214
	s_waitcnt vmcnt(1)
	v_dot4c_i32_i8 v239, v213, v0
	s_waitcnt vmcnt(0)
	v_dot4c_i32_i8 v240, v210, v1
	s_clause 0x1
	buffer_load_dword v0, off, s[96:99], 0 offset:384
	buffer_load_dword v1, off, s[96:99], 0 offset:388
	v_cvt_f32_i32_e32 v47, v239
	v_cvt_f32_i32_e32 v52, v240
	v_fma_f32 v47, v8, v47, -v9
	v_fma_f32 v52, v8, v52, -v9
	v_fma_mix_f32 v42, v47, v43, v42 op_sel_hi:[0,1,0]
	v_fma_mix_f32 v42, v52, v43, v42 op_sel_hi:[0,1,0]
	s_waitcnt vmcnt(1)
	v_dot4c_i32_i8 v241, v223, v0
	s_waitcnt vmcnt(0)
	v_dot4c_i32_i8 v242, v222, v1
	s_clause 0x1
	buffer_load_dword v0, off, s[96:99], 0 offset:392
	buffer_load_dword v1, off, s[96:99], 0 offset:396
	v_cvt_f32_i32_e32 v121, v241
	v_cvt_f32_i32_e32 v47, v242
	v_fma_f32 v121, v8, v121, -v9
	v_fma_f32 v47, v8, v47, -v9
	v_fma_mix_f32 v42, v121, v43, v42 op_sel_hi:[0,1,0]
	v_fma_mix_f32 v42, v47, v43, v42 op_sel_hi:[0,1,0]
	s_waitcnt vmcnt(1)
	v_dot4c_i32_i8 v243, v49, v0
	s_waitcnt vmcnt(0)
	v_dot4c_i32_i8 v244, v50, v1
	s_clause 0x1
	buffer_load_dword v0, off, s[96:99], 0 offset:400
	buffer_load_dword v1, off, s[96:99], 0 offset:404
	v_cvt_f32_i32_e32 v52, v243
	v_cvt_f32_i32_e32 v121, v244
	v_fma_f32 v123, v10, v52, -v11
	v_and_b32_e32 v52, 0xf0f0f0f, v232
	v_fma_f32 v47, v10, v121, -v11
	v_fma_mix_f32 v42, v123, v46, v42 op_sel_hi:[0,1,0]
	v_lshrrev_b32_e32 v123, 4, v214
	v_and_b32_e32 v214, 0xf0f0f0f, v120
	v_fma_mix_f32 v42, v47, v46, v42 op_sel_hi:[0,1,0]
	v_and_b32_e32 v211, 0xf0f0f0f, v123
	s_waitcnt vmcnt(1)
	v_dot4c_i32_i8 v245, v219, v0
	s_waitcnt vmcnt(0)
	v_dot4c_i32_i8 v246, v218, v1
	s_clause 0x1
	buffer_load_dword v0, off, s[96:99], 0 offset:408
	buffer_load_dword v1, off, s[96:99], 0 offset:412
	v_cvt_f32_i32_e32 v121, v245
	v_cvt_f32_i32_e32 v209, v246
	v_fma_f32 v121, v10, v121, -v11
	v_fma_f32 v209, v10, v209, -v11
	v_fma_mix_f32 v42, v121, v46, v42 op_sel_hi:[0,1,0]
	v_lshrrev_b32_e32 v121, 4, v232
	v_fma_mix_f32 v42, v209, v46, v42 op_sel_hi:[0,1,0]
	s_waitcnt vmcnt(1)
	v_dot4c_i32_i8 v247, v48, v0
	s_waitcnt vmcnt(0)
	v_dot4c_i32_i8 v248, v51, v1
	s_clause 0x1
	buffer_load_dword v0, off, s[96:99], 0 offset:416
	buffer_load_dword v1, off, s[96:99], 0 offset:420
	v_cvt_f32_i32_e32 v47, v247
	v_cvt_f32_i32_e32 v120, v248
	v_fma_f32 v47, v12, v47, -v13
	v_fma_f32 v120, v12, v120, -v13
	v_fma_mix_f32 v42, v47, v44, v42 op_sel_hi:[0,1,0]
	v_and_b32_e32 v47, 0xf0f0f0f, v233
	v_fma_mix_f32 v42, v120, v44, v42 op_sel_hi:[0,1,0]
	s_waitcnt vmcnt(1)
	v_dot4c_i32_i8 v249, v216, v0
	s_waitcnt vmcnt(0)
	v_dot4c_i32_i8 v250, v214, v1
	s_clause 0x1
	buffer_load_dword v0, off, s[96:99], 0 offset:424
	buffer_load_dword v1, off, s[96:99], 0 offset:428
	v_cvt_f32_i32_e32 v209, v249
	v_cvt_f32_i32_e32 v212, v250
	v_fma_f32 v209, v12, v209, -v13
	v_fma_f32 v123, v12, v212, -v13
	v_and_b32_e32 v212, 0xf0f0f0f, v121
	v_and_b32_e32 v121, 0xf0f0f0f, v234
	v_fma_mix_f32 v42, v209, v44, v42 op_sel_hi:[0,1,0]
	v_fma_mix_f32 v42, v123, v44, v42 op_sel_hi:[0,1,0]
	s_waitcnt vmcnt(1)
	v_dot4c_i32_i8 v251, v53, v0
	s_waitcnt vmcnt(0)
	v_dot4c_i32_i8 v252, v52, v1
	s_clause 0x1
	buffer_load_dword v0, off, s[96:99], 0 offset:432
	buffer_load_dword v1, off, s[96:99], 0 offset:436
	v_cvt_f32_i32_e32 v120, v251
	v_cvt_f32_i32_e32 v209, v252
	v_fma_f32 v120, v14, v120, -v15
	v_fma_f32 v123, v14, v209, -v15
	v_fma_mix_f32 v42, v120, v39, v42 op_sel_hi:[0,1,0]
	v_lshrrev_b32_e32 v120, 4, v233
	v_fma_mix_f32 v42, v123, v39, v42 op_sel_hi:[0,1,0]
	v_lshrrev_b32_e32 v123, 4, v234
	v_mov_b32_e32 v234, v126
	s_waitcnt vmcnt(1)
	v_dot4c_i32_i8 v253, v211, v0
	s_waitcnt vmcnt(0)
	v_dot4c_i32_i8 v254, v212, v1
	s_clause 0x1
	buffer_load_dword v0, off, s[96:99], 0 offset:440
	buffer_load_dword v1, off, s[96:99], 0 offset:444
	v_cvt_f32_i32_e32 v209, v253
	v_cvt_f32_i32_e32 v232, v254
	v_fma_f32 v209, v14, v209, -v15
	v_fma_f32 v232, v14, v232, -v15
	v_fma_mix_f32 v42, v209, v39, v42 op_sel_hi:[0,1,0]
	v_and_b32_e32 v209, 0xf0f0f0f, v120
	v_and_b32_e32 v120, 0xf0f0f0f, v123
	v_fma_mix_f32 v42, v232, v39, v42 op_sel_hi:[0,1,0]
	s_waitcnt vmcnt(1)
	v_dot4c_i32_i8 v255, v47, v0
	s_waitcnt vmcnt(0)
	v_dot4c_i32_i8 v122, v121, v1
	s_clause 0x1
	buffer_load_dword v0, off, s[96:99], 0 offset:448
	buffer_load_dword v1, off, s[96:99], 0 offset:452
	buffer_store_dword v98, off, s[96:99], 0 offset:960 ; 4-byte Folded Spill
	buffer_store_dword v94, off, s[96:99], 0 offset:964 ; 4-byte Folded Spill
	buffer_store_dword v173, off, s[96:99], 0 offset:968 ; 4-byte Folded Spill
	buffer_store_dword v176, off, s[96:99], 0 offset:972 ; 4-byte Folded Spill
	buffer_store_dword v181, off, s[96:99], 0 offset:976 ; 4-byte Folded Spill
	buffer_store_dword v172, off, s[96:99], 0 offset:980 ; 4-byte Folded Spill
	buffer_store_dword v197, off, s[96:99], 0 offset:984 ; 4-byte Folded Spill
	buffer_store_dword v175, off, s[96:99], 0 offset:988 ; 4-byte Folded Spill
	buffer_store_dword v177, off, s[96:99], 0 offset:992 ; 4-byte Folded Spill
	buffer_store_dword v182, off, s[96:99], 0 offset:996 ; 4-byte Folded Spill
	buffer_store_dword v72, off, s[96:99], 0 offset:1084 ; 4-byte Folded Spill
	v_cvt_f32_i32_e32 v233, v255
	v_cvt_f32_i32_e32 v122, v122
	v_fma_f32 v123, v16, v233, -v17
	v_fma_f32 v122, v16, v122, -v17
	v_fma_mix_f32 v42, v123, v38, v42 op_sel_hi:[0,1,0]
	v_fma_mix_f32 v42, v122, v38, v42 op_sel_hi:[0,1,0]
	s_waitcnt vmcnt(1)
	v_dot4c_i32_i8 v124, v209, v0
	s_waitcnt vmcnt(0)
	v_dot4c_i32_i8 v128, v120, v1
	v_cvt_f32_i32_e32 v123, v124
	v_cvt_f32_i32_e32 v124, v128
	v_fma_f32 v122, v16, v123, -v17
	v_fma_f32 v123, v16, v124, -v17
	v_fma_mix_f32 v42, v122, v38, v42 op_sel_hi:[0,1,0]
	v_fma_mix_f32 v42, v123, v38, v42 op_sel_hi:[0,1,0]
	ds_bpermute_b32 v122, v126, v42
	s_waitcnt lgkmcnt(0)
	v_add_f32_e32 v42, v42, v122
	s_cbranch_vccnz .LBB28_28
; %bb.27:                               ;   in Loop: Header=BB28_22 Depth=1
	s_clause 0x1
	buffer_load_dword v0, off, s[96:99], 0 offset:20
	buffer_load_dword v123, off, s[96:99], 0 offset:324
	s_waitcnt vmcnt(1)
	v_add_co_u32 v232, vcc_lo, v0, s65
	buffer_load_dword v0, off, s[96:99], 0 offset:24 ; 4-byte Folded Reload
	s_waitcnt vmcnt(0)
	v_add_co_ci_u32_e64 v233, null, s67, v0, vcc_lo
	global_load_ushort v122, v[232:233], off
	s_waitcnt vmcnt(0)
	v_fma_mix_f32 v42, v123, v122, v42 op_sel_hi:[0,1,0]
.LBB28_28:                              ;   in Loop: Header=BB28_22 Depth=1
	buffer_store_dword v186, off, s[96:99], 0 offset:916 ; 4-byte Folded Spill
	buffer_store_dword v185, off, s[96:99], 0 offset:912 ; 4-byte Folded Spill
	;; [unrolled: 1-line block ×5, first 2 shown]
	s_clause 0x1
	buffer_load_dword v0, off, s[96:99], 0 offset:456
	buffer_load_dword v1, off, s[96:99], 0 offset:460
	v_mov_b32_e32 v122, 0
	v_mov_b32_e32 v123, 0
	;; [unrolled: 1-line block ×4, first 2 shown]
	v_cvt_f32_f16_e32 v40, v40
	v_cvt_f32_f16_e32 v41, v41
	;; [unrolled: 1-line block ×8, first 2 shown]
	v_mov_b32_e32 v2, v132
	v_mov_b32_e32 v10, v133
	;; [unrolled: 1-line block ×8, first 2 shown]
	s_andn2_b32 vcc_lo, exec_lo, s85
	s_waitcnt vmcnt(1)
	v_dot4c_i32_i8 v122, v226, v0
	s_waitcnt vmcnt(0)
	v_dot4c_i32_i8 v123, v224, v1
	s_clause 0x1
	buffer_load_dword v0, off, s[96:99], 0 offset:464
	buffer_load_dword v1, off, s[96:99], 0 offset:468
	v_mov_b32_e32 v224, 0
	v_mov_b32_e32 v226, 0
	v_cvt_f32_i32_e32 v122, v122
	v_cvt_f32_i32_e32 v123, v123
	v_fma_f32 v122, v18, v122, -v19
	v_fma_f32 v123, v18, v123, -v19
	v_fma_f32 v122, v122, v40, 0
	v_fmac_f32_e32 v122, v123, v40
	v_mov_b32_e32 v123, 0
	s_waitcnt vmcnt(1)
	v_dot4c_i32_i8 v124, v231, v0
	s_waitcnt vmcnt(0)
	v_dot4c_i32_i8 v128, v230, v1
	s_clause 0x1
	buffer_load_dword v0, off, s[96:99], 0 offset:472
	buffer_load_dword v1, off, s[96:99], 0 offset:476
	v_cvt_f32_i32_e32 v124, v124
	v_cvt_f32_i32_e32 v128, v128
	v_fma_f32 v124, v18, v124, -v19
	v_fma_f32 v128, v18, v128, -v19
	v_fmac_f32_e32 v122, v124, v40
	v_mov_b32_e32 v124, 0
	v_fmac_f32_e32 v122, v128, v40
	v_mov_b32_e32 v40, 0
	s_waitcnt vmcnt(1)
	v_dot4c_i32_i8 v224, v220, v0
	s_waitcnt vmcnt(0)
	v_dot4c_i32_i8 v226, v221, v1
	s_clause 0x1
	buffer_load_dword v0, off, s[96:99], 0 offset:480
	buffer_load_dword v1, off, s[96:99], 0 offset:484
	v_cvt_f32_i32_e32 v220, v224
	v_cvt_f32_i32_e32 v221, v226
	v_fma_f32 v220, v20, v220, -v21
	v_fma_f32 v128, v20, v221, -v21
	v_fmac_f32_e32 v122, v220, v41
	v_mov_b32_e32 v220, 0
	;; [unrolled: 15-line block ×3, first 2 shown]
	v_fmac_f32_e32 v122, v124, v41
	v_mov_b32_e32 v41, 0
	s_waitcnt vmcnt(1)
	v_dot4c_i32_i8 v40, v217, v0
	s_waitcnt vmcnt(0)
	v_dot4c_i32_i8 v220, v215, v1
	s_clause 0x1
	buffer_load_dword v0, off, s[96:99], 0 offset:496
	buffer_load_dword v1, off, s[96:99], 0 offset:500
	v_cvt_f32_i32_e32 v40, v40
	v_cvt_f32_i32_e32 v215, v220
	v_fma_f32 v40, v22, v40, -v23
	v_fmac_f32_e32 v122, v40, v45
	v_mov_b32_e32 v40, 0
	s_waitcnt vmcnt(1)
	v_dot4c_i32_i8 v128, v227, v0
	s_waitcnt vmcnt(0)
	v_dot4c_i32_i8 v123, v225, v1
	s_clause 0x1
	buffer_load_dword v0, off, s[96:99], 0 offset:504
	buffer_load_dword v1, off, s[96:99], 0 offset:508
	v_cvt_f32_i32_e32 v124, v128
	v_fma_f32 v128, v22, v215, -v23
	v_cvt_f32_i32_e32 v123, v123
	v_fma_f32 v124, v22, v124, -v23
	v_fmac_f32_e32 v122, v128, v45
	v_mov_b32_e32 v128, 0
	v_fma_f32 v123, v22, v123, -v23
	v_fmac_f32_e32 v122, v124, v45
	v_mov_b32_e32 v124, 0
	v_fmac_f32_e32 v122, v123, v45
	v_mov_b32_e32 v45, 0
	s_waitcnt vmcnt(1)
	v_dot4c_i32_i8 v41, v213, v0
	s_waitcnt vmcnt(0)
	v_dot4c_i32_i8 v40, v210, v1
	s_clause 0x1
	buffer_load_dword v0, off, s[96:99], 0 offset:512
	buffer_load_dword v1, off, s[96:99], 0 offset:516
	v_cvt_f32_i32_e32 v41, v41
	v_cvt_f32_i32_e32 v40, v40
	v_fma_f32 v41, v24, v41, -v25
	v_fma_f32 v40, v24, v40, -v25
	v_fmac_f32_e32 v122, v41, v43
	v_mov_b32_e32 v41, 0
	v_fmac_f32_e32 v122, v40, v43
	v_mov_b32_e32 v40, 0
	s_waitcnt vmcnt(1)
	v_dot4c_i32_i8 v128, v223, v0
	s_waitcnt vmcnt(0)
	v_dot4c_i32_i8 v124, v222, v1
	s_clause 0x1
	buffer_load_dword v0, off, s[96:99], 0 offset:520
	buffer_load_dword v1, off, s[96:99], 0 offset:524
	v_cvt_f32_i32_e32 v123, v128
	v_fma_f32 v123, v24, v123, -v25
	v_fmac_f32_e32 v122, v123, v43
	s_waitcnt vmcnt(1)
	v_dot4c_i32_i8 v45, v49, v0
	s_waitcnt vmcnt(0)
	v_dot4c_i32_i8 v41, v50, v1
	s_clause 0x1
	buffer_load_dword v0, off, s[96:99], 0 offset:528
	buffer_load_dword v1, off, s[96:99], 0 offset:532
	v_mov_b32_e32 v50, 0
	v_cvt_f32_i32_e32 v49, v124
	v_cvt_f32_i32_e32 v45, v45
	;; [unrolled: 1-line block ×3, first 2 shown]
	v_fma_f32 v49, v24, v49, -v25
	v_fma_f32 v45, v26, v45, -v27
	;; [unrolled: 1-line block ×3, first 2 shown]
	v_fmac_f32_e32 v122, v49, v43
	v_mov_b32_e32 v43, 0
	v_fmac_f32_e32 v122, v45, v46
	v_mov_b32_e32 v45, 0
	;; [unrolled: 2-line block ×3, first 2 shown]
	s_waitcnt vmcnt(1)
	v_dot4c_i32_i8 v40, v219, v0
	s_waitcnt vmcnt(0)
	v_dot4c_i32_i8 v50, v218, v1
	s_clause 0x1
	buffer_load_dword v0, off, s[96:99], 0 offset:536
	buffer_load_dword v1, off, s[96:99], 0 offset:540
	v_cvt_f32_i32_e32 v40, v40
	v_fma_f32 v40, v26, v40, -v27
	v_fmac_f32_e32 v122, v40, v46
	s_waitcnt vmcnt(1)
	v_dot4c_i32_i8 v43, v48, v0
	s_waitcnt vmcnt(0)
	v_dot4c_i32_i8 v45, v51, v1
	s_clause 0x1
	buffer_load_dword v0, off, s[96:99], 0 offset:544
	buffer_load_dword v1, off, s[96:99], 0 offset:548
	v_cvt_f32_i32_e32 v48, v50
	v_cvt_f32_i32_e32 v43, v43
	;; [unrolled: 1-line block ×3, first 2 shown]
	v_mov_b32_e32 v45, 0
	v_fma_f32 v48, v26, v48, -v27
	v_fma_f32 v43, v28, v43, -v29
	v_fma_f32 v40, v28, v40, -v29
	v_fmac_f32_e32 v122, v48, v46
	v_mov_b32_e32 v46, 0
	v_fmac_f32_e32 v122, v43, v44
	v_mov_b32_e32 v43, 0
	v_fmac_f32_e32 v122, v40, v44
	s_waitcnt vmcnt(1)
	v_dot4c_i32_i8 v41, v216, v0
	s_waitcnt vmcnt(0)
	v_dot4c_i32_i8 v45, v214, v1
	s_clause 0x1
	buffer_load_dword v0, off, s[96:99], 0 offset:552
	buffer_load_dword v1, off, s[96:99], 0 offset:556
	v_cvt_f32_i32_e32 v41, v41
	v_cvt_f32_i32_e32 v40, v45
	v_fma_f32 v41, v28, v41, -v29
	v_fma_f32 v40, v28, v40, -v29
	v_fmac_f32_e32 v122, v41, v44
	v_fmac_f32_e32 v122, v40, v44
	v_mov_b32_e32 v44, 0
	s_waitcnt vmcnt(1)
	v_dot4c_i32_i8 v46, v53, v0
	s_waitcnt vmcnt(0)
	v_dot4c_i32_i8 v43, v52, v1
	s_clause 0x1
	buffer_load_dword v0, off, s[96:99], 0 offset:560
	buffer_load_dword v1, off, s[96:99], 0 offset:564
	v_cvt_f32_i32_e32 v45, v46
	v_mov_b32_e32 v46, 0
	v_cvt_f32_i32_e32 v43, v43
	v_fma_f32 v41, v30, v45, -v31
	v_mov_b32_e32 v45, 0
	v_fma_f32 v43, v30, v43, -v31
	v_fmac_f32_e32 v122, v41, v39
	v_mov_b32_e32 v41, 0
	v_fmac_f32_e32 v122, v43, v39
	v_mov_b32_e32 v43, 0
	s_waitcnt vmcnt(1)
	v_dot4c_i32_i8 v46, v211, v0
	s_waitcnt vmcnt(0)
	v_dot4c_i32_i8 v45, v212, v1
	s_clause 0x1
	buffer_load_dword v0, off, s[96:99], 0 offset:568
	buffer_load_dword v1, off, s[96:99], 0 offset:572
	v_cvt_f32_i32_e32 v40, v46
	v_cvt_f32_i32_e32 v45, v45
	v_fma_f32 v40, v30, v40, -v31
	v_fma_f32 v45, v30, v45, -v31
	v_fmac_f32_e32 v122, v40, v39
	v_fmac_f32_e32 v122, v45, v39
	s_waitcnt vmcnt(1)
	v_dot4c_i32_i8 v41, v47, v0
	s_waitcnt vmcnt(0)
	v_dot4c_i32_i8 v44, v121, v1
	s_clause 0x1
	buffer_load_dword v0, off, s[96:99], 0 offset:576
	buffer_load_dword v1, off, s[96:99], 0 offset:580
	buffer_store_dword v73, off, s[96:99], 0 offset:1080 ; 4-byte Folded Spill
	buffer_store_dword v82, off, s[96:99], 0 offset:956 ; 4-byte Folded Spill
	;; [unrolled: 1-line block ×19, first 2 shown]
	buffer_store_dword v150, off, s[96:99], 0 ; 4-byte Folded Spill
	buffer_store_dword v2, off, s[96:99], 0 offset:4 ; 4-byte Folded Spill
	buffer_store_dword v125, off, s[96:99], 0 offset:8 ; 4-byte Folded Spill
	;; [unrolled: 1-line block ×14, first 2 shown]
	v_cvt_f32_i32_e32 v40, v41
	v_cvt_f32_i32_e32 v41, v44
	v_fma_f32 v39, v32, v40, -v33
	v_mov_b32_e32 v40, 0
	v_fma_f32 v41, v32, v41, -v33
	v_fmac_f32_e32 v122, v39, v38
	v_fmac_f32_e32 v122, v41, v38
	s_waitcnt vmcnt(1)
	v_dot4c_i32_i8 v43, v209, v0
	s_waitcnt vmcnt(0)
	v_dot4c_i32_i8 v40, v120, v1
	v_cvt_f32_i32_e32 v43, v43
	v_cvt_f32_i32_e32 v40, v40
	v_fma_f32 v39, v32, v43, -v33
	v_fmac_f32_e32 v122, v39, v38
	v_fma_f32 v39, v32, v40, -v33
	v_fmac_f32_e32 v122, v39, v38
	ds_bpermute_b32 v38, v234, v122
	s_waitcnt lgkmcnt(0)
	v_add_f32_e32 v43, v122, v38
	s_cbranch_vccnz .LBB28_21
; %bb.29:                               ;   in Loop: Header=BB28_22 Depth=1
	v_add_co_u32 v38, vcc_lo, v125, s65
	v_add_co_ci_u32_e64 v39, null, s67, v2, vcc_lo
	global_load_ushort v38, v[38:39], off
	buffer_load_dword v39, off, s[96:99], 0 offset:324 ; 4-byte Folded Reload
	s_waitcnt vmcnt(0)
	v_fma_mix_f32 v43, v39, v38, v43 op_sel_hi:[0,1,0]
	s_branch .LBB28_21
.LBB28_30:
	s_clause 0x6
	buffer_load_dword v39, off, s[96:99], 0 offset:1264
	buffer_load_dword v36, off, s[96:99], 0 offset:1268
	;; [unrolled: 1-line block ×7, first 2 shown]
.LBB28_31:
	s_cmp_eq_u64 s[56:57], 0
	s_cselect_b32 s1, -1, 0
	s_cmp_lg_u32 s68, 0
	s_cselect_b32 s2, -1, 0
	s_or_b32 s1, s2, s1
	s_nor_b32 s0, s1, s0
	s_and_saveexec_b32 s1, s0
	s_cbranch_execz .LBB28_33
; %bb.32:
	s_ashr_i32 s73, s72, 31
	s_waitcnt vmcnt(5)
	v_cmp_eq_u32_e32 vcc_lo, 1, v36
	s_lshl_b64 s[2:3], s[72:73], 2
	v_lshl_add_u32 v9, v36, 4, v127
	s_add_u32 s2, s56, s2
	s_addc_u32 s3, s57, s3
	v_cndmask_b32_e32 v0, v78, v79, vcc_lo
	s_load_dword s0, s[2:3], 0x0
	v_max_f32_e32 v1, v0, v0
	s_waitcnt lgkmcnt(0)
	v_max_f32_e64 v2, s0, s0
	v_max_f32_e32 v4, v1, v2
	v_sub_f32_e32 v5, v0, v4
	v_sub_f32_e32 v6, s0, v4
	v_cndmask_b32_e32 v79, v79, v4, vcc_lo
	v_mul_f32_e32 v0, 0x3fb8aa3b, v5
	v_mul_f32_e32 v1, 0x3fb8aa3b, v6
	v_cmp_ngt_f32_e64 s0, 0xc2ce8ed0, v5
	v_fma_f32 v2, 0x3fb8aa3b, v5, -v0
	v_rndne_f32_e32 v3, v0
	v_fma_f32 v7, 0x3fb8aa3b, v6, -v1
	v_rndne_f32_e32 v8, v1
	v_fmac_f32_e32 v2, 0x32a5705f, v5
	v_sub_f32_e32 v0, v0, v3
	v_fmac_f32_e32 v7, 0x32a5705f, v6
	v_sub_f32_e32 v1, v1, v8
	v_cvt_i32_f32_e32 v8, v8
	v_add_f32_e32 v0, v0, v2
	v_add_f32_e32 v1, v1, v7
	v_exp_f32_e32 v0, v0
	v_exp_f32_e32 v7, v1
	v_cvt_i32_f32_e32 v1, v3
	v_ldexp_f32 v10, v0, v1
	ds_read_b128 v[0:3], v9
	v_ldexp_f32 v7, v7, v8
	v_cndmask_b32_e64 v8, 0, v10, s0
	v_cmp_ngt_f32_e64 s0, 0xc2ce8ed0, v6
	s_waitcnt vmcnt(0)
	v_cndmask_b32_e32 v10, v40, v41, vcc_lo
	v_cndmask_b32_e64 v7, 0, v7, s0
	v_cmp_nlt_f32_e64 s0, 0x42b17218, v5
	v_cndmask_b32_e64 v5, 0x7f800000, v8, s0
	v_cmp_nlt_f32_e64 s0, 0x42b17218, v6
	v_mov_b32_e32 v8, 0x10001
	v_cndmask_b32_e64 v6, 0x7f800000, v7, s0
	v_cmp_eq_u32_e64 s0, 0, v39
	v_cvt_f16_f32_e32 v7, v5
	v_cndmask_b32_e64 v6, 0, v6, s0
	v_mul_u32_u24_sdwa v7, v7, v8 dst_sel:DWORD dst_unused:UNUSED_PAD src0_sel:WORD_0 src1_sel:DWORD
	v_cmp_eq_u32_e64 s0, 0, v36
	v_fmac_f32_e32 v6, v10, v5
	s_waitcnt lgkmcnt(0)
	v_pk_mul_f16 v0, v0, v7
	v_cndmask_b32_e64 v78, v78, v4, s0
	v_pk_mul_f16 v1, v1, v7
	v_pk_mul_f16 v2, v2, v7
	;; [unrolled: 1-line block ×3, first 2 shown]
	v_cndmask_b32_e32 v41, v41, v6, vcc_lo
	v_cndmask_b32_e64 v40, v40, v6, s0
	ds_write_b128 v9, v[0:3]
.LBB28_33:
	s_or_b32 exec_lo, exec_lo, s1
	s_waitcnt vmcnt(3)
	v_add_nc_u32_e32 v0, 0x900, v38
	v_or_b32_e32 v8, 0x800, v38
	s_mov_b32 s0, exec_lo
	v_cmpx_eq_u32_e32 0, v36
	s_cbranch_execz .LBB28_35
; %bb.34:
	v_mov_b32_e32 v1, 0xfeffffff
	v_mov_b32_e32 v2, 0
	ds_write2_b32 v8, v1, v1 offset1:32
	ds_write2_b32 v0, v2, v2 offset1:32
.LBB28_35:
	s_or_b32 exec_lo, exec_lo, s0
	v_cmp_eq_u32_e64 s0, 0, v39
	s_waitcnt vmcnt(0) lgkmcnt(0)
	s_waitcnt_vscnt null, 0x0
	s_barrier
	buffer_gl0_inv
	s_and_saveexec_b32 s1, s0
; %bb.36:
	v_lshlrev_b32_e32 v1, 2, v36
	v_add_nc_u32_e32 v1, 0x800, v1
	ds_write2_b32 v1, v78, v79 offset1:32
; %bb.37:
	s_or_b32 exec_lo, exec_lo, s1
	s_cmp_lt_i32 s84, s70
	s_waitcnt lgkmcnt(0)
	s_barrier
	buffer_gl0_inv
	s_cbranch_scc1 .LBB28_39
; %bb.38:
	s_load_dword s3, s[6:7], 0xd4
	s_cbranch_execz .LBB28_40
	s_branch .LBB28_47
.LBB28_39:
                                        ; implicit-def: $sgpr3
.LBB28_40:
	v_mbcnt_lo_u32_b32 v9, -1, 0
	ds_read_b32 v2, v8
	s_waitcnt lgkmcnt(0)
	s_load_dword s3, s[6:7], 0xd4
	v_lshlrev_b32_e32 v20, 3, v39
	v_xor_b32_e32 v1, 16, v9
	v_xor_b32_e32 v4, 8, v9
	;; [unrolled: 1-line block ×4, first 2 shown]
	v_cmp_gt_i32_e32 vcc_lo, 32, v1
	v_cndmask_b32_e32 v1, v9, v1, vcc_lo
	v_cmp_gt_i32_e32 vcc_lo, 32, v4
	v_lshlrev_b32_e32 v1, 2, v1
	v_cndmask_b32_e32 v4, v9, v4, vcc_lo
	v_cmp_gt_i32_e32 vcc_lo, 32, v5
	ds_bpermute_b32 v3, v1, v2
	v_max_f32_e32 v2, v2, v2
	v_lshlrev_b32_e32 v4, 2, v4
	v_cndmask_b32_e32 v5, v9, v5, vcc_lo
	v_cmp_gt_i32_e32 vcc_lo, 32, v6
	v_lshlrev_b32_e32 v5, 2, v5
	v_cndmask_b32_e32 v6, v9, v6, vcc_lo
	v_lshlrev_b32_e32 v7, 2, v6
	v_xor_b32_e32 v6, 1, v9
	v_cmp_gt_i32_e32 vcc_lo, 32, v6
	s_waitcnt lgkmcnt(0)
	v_max_f32_e32 v3, v3, v3
	v_cndmask_b32_e32 v6, v9, v6, vcc_lo
	v_max_f32_e32 v2, v2, v3
	v_lshlrev_b32_e32 v6, 2, v6
	ds_bpermute_b32 v3, v4, v2
	s_waitcnt lgkmcnt(0)
	v_max_f32_e32 v3, v3, v3
	v_max_f32_e32 v2, v2, v3
	ds_bpermute_b32 v3, v5, v2
	s_waitcnt lgkmcnt(0)
	v_max_f32_e32 v3, v3, v3
	v_max_f32_e32 v2, v2, v3
	;; [unrolled: 4-line block ×4, first 2 shown]
	v_sub_f32_e32 v3, v78, v2
	v_mul_f32_e32 v9, 0x3fb8aa3b, v3
	v_cmp_ngt_f32_e32 vcc_lo, 0xc2ce8ed0, v3
	v_fma_f32 v10, 0x3fb8aa3b, v3, -v9
	v_rndne_f32_e32 v11, v9
	v_fmamk_f32 v10, v3, 0x32a5705f, v10
	v_sub_f32_e32 v9, v9, v11
	v_add_f32_e32 v9, v9, v10
	v_cvt_i32_f32_e32 v10, v11
	v_exp_f32_e32 v9, v9
	v_ldexp_f32 v9, v9, v10
	v_cndmask_b32_e32 v9, 0, v9, vcc_lo
	v_cmp_nlt_f32_e32 vcc_lo, 0x42b17218, v3
	v_cndmask_b32_e32 v3, 0x7f800000, v9, vcc_lo
	v_mul_f32_e32 v9, v3, v40
	ds_bpermute_b32 v9, v1, v9
	s_waitcnt lgkmcnt(0)
	v_fmac_f32_e32 v9, v3, v40
	v_cvt_f16_f32_e32 v3, v3
	ds_bpermute_b32 v10, v4, v9
	s_waitcnt lgkmcnt(0)
	v_add_f32_e32 v9, v9, v10
	ds_bpermute_b32 v10, v5, v9
	s_waitcnt lgkmcnt(0)
	v_add_f32_e32 v9, v9, v10
	ds_read_b128 v[10:13], v127
	ds_bpermute_b32 v14, v7, v9
	s_waitcnt lgkmcnt(0)
	v_add_f32_e32 v18, v9, v14
	v_mov_b32_e32 v9, 0x10001
	ds_bpermute_b32 v19, v6, v18
	v_mul_u32_u24_sdwa v3, v3, v9 dst_sel:DWORD dst_unused:UNUSED_PAD src0_sel:WORD_0 src1_sel:DWORD
	v_lshl_add_u32 v9, v36, 2, 0x900
	v_pk_mul_f16 v14, v10, v3
	v_pk_mul_f16 v15, v11, v3
	;; [unrolled: 1-line block ×4, first 2 shown]
	v_add_nc_u32_e32 v10, v37, v20
	ds_write_b128 v127, v[14:17]
	ds_write2_b64 v10, v[14:15], v[16:17] offset1:32
	s_waitcnt lgkmcnt(2)
	v_add_f32_e32 v3, v18, v19
	s_and_saveexec_b32 s1, s0
; %bb.41:
	ds_write_b32 v9, v3
; %bb.42:
	s_or_b32 exec_lo, exec_lo, s1
	s_waitcnt lgkmcnt(0)
	s_barrier
	buffer_gl0_inv
	buffer_load_dword v19, off, s[96:99], 0 offset:1104 ; 4-byte Folded Reload
	ds_read_b32 v3, v0
	s_cmp_eq_u32 s3, 1
	s_mul_i32 s4, s69, s70
	s_cselect_b32 s1, -1, 0
	s_add_i32 s4, s4, s84
	s_waitcnt vmcnt(0)
	ds_read_u16 v11, v19
	ds_read_u16 v12, v19 offset:1280
	ds_read_u16 v13, v19 offset:768
	;; [unrolled: 1-line block ×3, first 2 shown]
	s_waitcnt lgkmcnt(4)
	ds_bpermute_b32 v15, v1, v3
	ds_read_u16 v16, v19 offset:512
	ds_read_u16 v17, v19 offset:1024
	;; [unrolled: 1-line block ×3, first 2 shown]
	s_mul_i32 s4, s4, s71
	s_add_i32 s4, s4, s72
	s_mul_i32 s5, s3, s4
	s_add_i32 s5, s5, s68
	s_waitcnt lgkmcnt(7)
	v_cvt_f32_f16_e32 v11, v11
	s_waitcnt lgkmcnt(6)
	v_cvt_f32_f16_e32 v12, v12
	;; [unrolled: 2-line block ×3, first 2 shown]
	v_add_f32_e32 v3, v3, v15
	v_add_f32_e32 v11, 0, v11
	s_waitcnt lgkmcnt(1)
	v_cvt_f32_f16_e32 v17, v17
	s_waitcnt lgkmcnt(0)
	v_cvt_f32_f16_e32 v18, v18
	v_cvt_f32_f16_e32 v14, v14
	ds_bpermute_b32 v15, v4, v3
	v_add_f32_e32 v11, v11, v16
	ds_read_u16 v16, v19 offset:1792
	v_add_f32_e32 v11, v11, v17
	v_add_f32_e32 v17, v11, v18
	;; [unrolled: 1-line block ×3, first 2 shown]
	s_waitcnt lgkmcnt(1)
	v_add_f32_e32 v3, v3, v15
	s_waitcnt lgkmcnt(0)
	v_cvt_f32_f16_e32 v14, v16
	ds_bpermute_b32 v15, v5, v3
	s_waitcnt lgkmcnt(0)
	v_add_f32_e32 v3, v3, v15
	ds_bpermute_b32 v15, v7, v3
	s_waitcnt lgkmcnt(0)
	v_add_f32_e32 v3, v3, v15
	;; [unrolled: 3-line block ×3, first 2 shown]
	v_cvt_f32_f16_e32 v3, v13
	v_div_scale_f32 v13, null, v40, v40, v17
	v_add_f32_e32 v3, v11, v3
	v_div_scale_f32 v15, vcc_lo, v17, v40, v17
	v_rcp_f32_e32 v11, v13
	v_add_f32_e32 v3, v3, v12
	v_add_f32_e32 v3, v3, v14
	v_fma_f32 v12, -v13, v11, 1.0
	v_div_scale_f32 v14, null, v40, v40, v3
	v_fmac_f32_e32 v11, v12, v11
	v_rcp_f32_e32 v16, v14
	v_mul_f32_e32 v12, v15, v11
	v_fma_f32 v18, -v13, v12, v15
	v_fma_f32 v19, -v14, v16, 1.0
	v_fmac_f32_e32 v12, v18, v11
	v_div_scale_f32 v18, s2, v3, v40, v3
	v_fmac_f32_e32 v16, v19, v16
	v_fma_f32 v13, -v13, v12, v15
	v_mul_f32_e32 v15, v18, v16
	v_div_fmas_f32 v11, v13, v11, v12
	s_mov_b32 vcc_lo, s2
	s_or_b32 s2, s84, 1
	v_fma_f32 v12, -v14, v15, v18
	s_cmp_ge_i32 s2, s70
	v_div_fixup_f32 v13, v11, v40, v17
	v_lshl_or_b32 v11, s5, 8, v34
	v_fmac_f32_e32 v15, v12, v16
	v_mov_b32_e32 v12, 0
	v_cndmask_b32_e64 v13, v17, v13, s1
	v_fma_f32 v14, -v14, v15, v18
	v_lshlrev_b64 v[11:12], 2, v[11:12]
	v_div_fmas_f32 v14, v14, v16, v15
	v_add_co_u32 v11, vcc_lo, s60, v11
	v_add_co_ci_u32_e64 v12, null, s61, v12, vcc_lo
	v_div_fixup_f32 v14, v14, v40, v3
	v_cndmask_b32_e64 v14, v3, v14, s1
	v_mov_b32_e32 v3, v79
	global_store_dword v[11:12], v13, off
	global_store_dword v[11:12], v14, off offset:512
	s_waitcnt_vscnt null, 0x0
	s_barrier
	buffer_gl0_inv
	s_cbranch_scc1 .LBB28_46
; %bb.43:
	ds_read_b32 v3, v8 offset:128
	v_mov_b32_e32 v17, 0x10001
	s_waitcnt lgkmcnt(0)
	ds_bpermute_b32 v8, v1, v3
	v_max_f32_e32 v3, v3, v3
	s_waitcnt lgkmcnt(0)
	v_max_f32_e32 v8, v8, v8
	v_max_f32_e32 v3, v3, v8
	ds_bpermute_b32 v8, v4, v3
	s_waitcnt lgkmcnt(0)
	v_max_f32_e32 v8, v8, v8
	v_max_f32_e32 v3, v3, v8
	ds_bpermute_b32 v8, v5, v3
	;; [unrolled: 4-line block ×4, first 2 shown]
	s_waitcnt lgkmcnt(0)
	v_max_f32_e32 v8, v8, v8
	v_max_f32_e32 v3, v3, v8
	v_sub_f32_e32 v8, v79, v3
	v_mul_f32_e32 v11, 0x3fb8aa3b, v8
	v_cmp_ngt_f32_e32 vcc_lo, 0xc2ce8ed0, v8
	v_fma_f32 v12, 0x3fb8aa3b, v8, -v11
	v_rndne_f32_e32 v13, v11
	v_fmamk_f32 v12, v8, 0x32a5705f, v12
	v_sub_f32_e32 v11, v11, v13
	v_add_f32_e32 v11, v11, v12
	v_cvt_i32_f32_e32 v12, v13
	v_exp_f32_e32 v11, v11
	v_ldexp_f32 v11, v11, v12
	v_cndmask_b32_e32 v11, 0, v11, vcc_lo
	v_cmp_nlt_f32_e32 vcc_lo, 0x42b17218, v8
	v_cndmask_b32_e32 v8, 0x7f800000, v11, vcc_lo
	v_mul_f32_e32 v11, v8, v41
	ds_bpermute_b32 v11, v1, v11
	s_waitcnt lgkmcnt(0)
	v_fmac_f32_e32 v11, v8, v41
	v_cvt_f16_f32_e32 v8, v8
	ds_bpermute_b32 v12, v4, v11
	v_mul_u32_u24_sdwa v8, v8, v17 dst_sel:DWORD dst_unused:UNUSED_PAD src0_sel:WORD_0 src1_sel:DWORD
	s_waitcnt lgkmcnt(0)
	v_add_f32_e32 v11, v11, v12
	ds_bpermute_b32 v12, v5, v11
	s_waitcnt lgkmcnt(0)
	v_add_f32_e32 v15, v11, v12
	ds_read_b128 v[11:14], v127 offset:16
	ds_bpermute_b32 v16, v7, v15
	s_waitcnt lgkmcnt(1)
	v_pk_mul_f16 v11, v11, v8
	v_pk_mul_f16 v12, v12, v8
	;; [unrolled: 1-line block ×4, first 2 shown]
	s_waitcnt lgkmcnt(0)
	v_add_f32_e32 v15, v15, v16
	ds_write_b128 v127, v[11:14] offset:16
	ds_write2_b64 v10, v[11:12], v[13:14] offset1:32
	ds_bpermute_b32 v16, v6, v15
	s_waitcnt lgkmcnt(0)
	v_add_f32_e32 v8, v15, v16
	s_and_saveexec_b32 s2, s0
; %bb.44:
	ds_write_b32 v9, v8 offset:128
; %bb.45:
	s_or_b32 exec_lo, exec_lo, s2
	s_waitcnt lgkmcnt(0)
	s_barrier
	buffer_gl0_inv
	buffer_load_dword v12, off, s[96:99], 0 offset:1104 ; 4-byte Folded Reload
	ds_read_b32 v0, v0 offset:128
	s_add_i32 s4, s4, s71
	s_waitcnt vmcnt(0)
	ds_read_u16 v8, v12
	ds_read_u16 v9, v12 offset:1280
	ds_read_u16 v10, v12 offset:768
	;; [unrolled: 1-line block ×3, first 2 shown]
	s_waitcnt lgkmcnt(4)
	ds_bpermute_b32 v1, v1, v0
	s_mul_i32 s2, s3, s4
	s_add_i32 s2, s2, s68
	s_waitcnt lgkmcnt(4)
	v_cvt_f32_f16_e32 v8, v8
	s_waitcnt lgkmcnt(2)
	v_cvt_f32_f16_e32 v10, v10
	;; [unrolled: 2-line block ×3, first 2 shown]
	s_waitcnt lgkmcnt(0)
	v_add_f32_e32 v0, v0, v1
	v_add_f32_e32 v8, 0, v8
	v_add_f32_e32 v11, 0, v11
	ds_bpermute_b32 v1, v4, v0
	s_waitcnt lgkmcnt(0)
	v_add_f32_e32 v0, v0, v1
	ds_bpermute_b32 v1, v5, v0
	s_waitcnt lgkmcnt(0)
	v_add_f32_e32 v0, v0, v1
	ds_bpermute_b32 v1, v7, v0
	ds_read_u16 v4, v12 offset:512
	ds_read_u16 v5, v12 offset:1024
	;; [unrolled: 1-line block ×3, first 2 shown]
	s_waitcnt lgkmcnt(2)
	v_cvt_f32_f16_e32 v4, v4
	v_add_f32_e32 v0, v0, v1
	ds_read_u16 v1, v12 offset:1792
	s_waitcnt lgkmcnt(2)
	v_cvt_f32_f16_e32 v5, v5
	s_waitcnt lgkmcnt(1)
	v_cvt_f32_f16_e32 v7, v7
	v_add_f32_e32 v4, v8, v4
	ds_bpermute_b32 v6, v6, v0
	v_cvt_f32_f16_e32 v8, v9
	v_add_f32_e32 v9, v11, v10
	v_add_f32_e32 v4, v4, v5
	v_add_f32_e32 v5, v9, v8
	v_add_f32_e32 v4, v4, v7
	s_waitcnt lgkmcnt(1)
	v_cvt_f32_f16_e32 v1, v1
	s_waitcnt lgkmcnt(0)
	v_add_f32_e32 v41, v0, v6
	v_add_f32_e32 v5, v5, v1
	v_div_scale_f32 v0, null, v41, v41, v4
	v_div_scale_f32 v6, null, v41, v41, v5
	v_div_scale_f32 v10, vcc_lo, v4, v41, v4
	v_rcp_f32_e32 v7, v0
	v_rcp_f32_e32 v8, v6
	v_div_scale_f32 v11, s0, v5, v41, v5
	v_fma_f32 v1, -v0, v7, 1.0
	v_fma_f32 v9, -v6, v8, 1.0
	v_fmac_f32_e32 v7, v1, v7
	v_fmac_f32_e32 v8, v9, v8
	v_mul_f32_e32 v9, v10, v7
	v_mul_f32_e32 v12, v11, v8
	v_fma_f32 v1, -v0, v9, v10
	v_fma_f32 v13, -v6, v12, v11
	v_fmac_f32_e32 v9, v1, v7
	v_fmac_f32_e32 v12, v13, v8
	v_mov_b32_e32 v1, 0
	v_fma_f32 v0, -v0, v9, v10
	v_fma_f32 v6, -v6, v12, v11
	v_div_fmas_f32 v7, v0, v7, v9
	v_lshl_or_b32 v0, s2, 8, v34
	s_mov_b32 vcc_lo, s0
	v_div_fmas_f32 v6, v6, v8, v12
	v_div_fixup_f32 v7, v7, v41, v4
	v_lshlrev_b64 v[0:1], 2, v[0:1]
	v_div_fixup_f32 v6, v6, v41, v5
	v_cndmask_b32_e64 v4, v4, v7, s1
	v_add_co_u32 v0, vcc_lo, s60, v0
	v_add_co_ci_u32_e64 v1, null, s61, v1, vcc_lo
	v_cndmask_b32_e64 v5, v5, v6, s1
	global_store_dword v[0:1], v4, off
	global_store_dword v[0:1], v5, off offset:512
.LBB28_46:
	v_mov_b32_e32 v79, v3
	v_mov_b32_e32 v78, v2
.LBB28_47:
	v_or_b32_e32 v0, s84, v39
	v_cmp_gt_u32_e32 vcc_lo, 2, v34
	s_waitcnt lgkmcnt(0)
	s_cmp_lg_u32 s3, 1
	s_cselect_b32 s1, -1, 0
	v_cmp_gt_i32_e64 s0, s70, v0
	s_and_b32 s1, s1, vcc_lo
	s_and_b32 s0, s1, s0
	s_and_saveexec_b32 s1, s0
	s_cbranch_execz .LBB28_49
; %bb.48:
	v_mad_u64_u32 v[0:1], null, s69, s70, v[0:1]
	v_cmp_eq_u32_e32 vcc_lo, 1, v34
	v_cndmask_b32_e32 v2, v78, v79, vcc_lo
	v_mad_u64_u32 v[0:1], null, v0, s71, s[72:73]
	v_cndmask_b32_e32 v3, v40, v41, vcc_lo
	v_mad_u64_u32 v[0:1], null, s3, v0, s[68:69]
	v_mov_b32_e32 v1, 0
	v_lshlrev_b64 v[0:1], 3, v[0:1]
	v_add_co_u32 v0, vcc_lo, s62, v0
	v_add_co_ci_u32_e64 v1, null, s63, v1, vcc_lo
	global_store_dwordx2 v[0:1], v[2:3], off
.LBB28_49:
	s_endpgm
	.section	.rodata,"a",@progbits
	.p2align	6, 0x0
	.amdhsa_kernel _ZL18flash_attn_ext_vecILi256ELi2EL9ggml_type2ELS0_2ELb0EEvPKcS2_S2_S2_S2_PKiPfP15HIP_vector_typeIfLj2EEffffjfiS6_IjLj3EEiiiiiiiiiiiliiliiiiil
		.amdhsa_group_segment_fixed_size 6656
		.amdhsa_private_segment_fixed_size 1288
		.amdhsa_kernarg_size 464
		.amdhsa_user_sgpr_count 8
		.amdhsa_user_sgpr_private_segment_buffer 1
		.amdhsa_user_sgpr_dispatch_ptr 1
		.amdhsa_user_sgpr_queue_ptr 0
		.amdhsa_user_sgpr_kernarg_segment_ptr 1
		.amdhsa_user_sgpr_dispatch_id 0
		.amdhsa_user_sgpr_flat_scratch_init 0
		.amdhsa_user_sgpr_private_segment_size 0
		.amdhsa_wavefront_size32 1
		.amdhsa_uses_dynamic_stack 0
		.amdhsa_system_sgpr_private_segment_wavefront_offset 1
		.amdhsa_system_sgpr_workgroup_id_x 1
		.amdhsa_system_sgpr_workgroup_id_y 1
		.amdhsa_system_sgpr_workgroup_id_z 1
		.amdhsa_system_sgpr_workgroup_info 0
		.amdhsa_system_vgpr_workitem_id 2
		.amdhsa_next_free_vgpr 256
		.amdhsa_next_free_sgpr 100
		.amdhsa_reserve_vcc 1
		.amdhsa_reserve_flat_scratch 0
		.amdhsa_float_round_mode_32 0
		.amdhsa_float_round_mode_16_64 0
		.amdhsa_float_denorm_mode_32 3
		.amdhsa_float_denorm_mode_16_64 3
		.amdhsa_dx10_clamp 1
		.amdhsa_ieee_mode 1
		.amdhsa_fp16_overflow 0
		.amdhsa_workgroup_processor_mode 1
		.amdhsa_memory_ordered 1
		.amdhsa_forward_progress 1
		.amdhsa_shared_vgpr_count 0
		.amdhsa_exception_fp_ieee_invalid_op 0
		.amdhsa_exception_fp_denorm_src 0
		.amdhsa_exception_fp_ieee_div_zero 0
		.amdhsa_exception_fp_ieee_overflow 0
		.amdhsa_exception_fp_ieee_underflow 0
		.amdhsa_exception_fp_ieee_inexact 0
		.amdhsa_exception_int_div_zero 0
	.end_amdhsa_kernel
	.section	.text._ZL18flash_attn_ext_vecILi256ELi2EL9ggml_type2ELS0_2ELb0EEvPKcS2_S2_S2_S2_PKiPfP15HIP_vector_typeIfLj2EEffffjfiS6_IjLj3EEiiiiiiiiiiiliiliiiiil,"axG",@progbits,_ZL18flash_attn_ext_vecILi256ELi2EL9ggml_type2ELS0_2ELb0EEvPKcS2_S2_S2_S2_PKiPfP15HIP_vector_typeIfLj2EEffffjfiS6_IjLj3EEiiiiiiiiiiiliiliiiiil,comdat
.Lfunc_end28:
	.size	_ZL18flash_attn_ext_vecILi256ELi2EL9ggml_type2ELS0_2ELb0EEvPKcS2_S2_S2_S2_PKiPfP15HIP_vector_typeIfLj2EEffffjfiS6_IjLj3EEiiiiiiiiiiiliiliiiiil, .Lfunc_end28-_ZL18flash_attn_ext_vecILi256ELi2EL9ggml_type2ELS0_2ELb0EEvPKcS2_S2_S2_S2_PKiPfP15HIP_vector_typeIfLj2EEffffjfiS6_IjLj3EEiiiiiiiiiiiliiliiiiil
                                        ; -- End function
	.set _ZL18flash_attn_ext_vecILi256ELi2EL9ggml_type2ELS0_2ELb0EEvPKcS2_S2_S2_S2_PKiPfP15HIP_vector_typeIfLj2EEffffjfiS6_IjLj3EEiiiiiiiiiiiliiliiiiil.num_vgpr, 256
	.set _ZL18flash_attn_ext_vecILi256ELi2EL9ggml_type2ELS0_2ELb0EEvPKcS2_S2_S2_S2_PKiPfP15HIP_vector_typeIfLj2EEffffjfiS6_IjLj3EEiiiiiiiiiiiliiliiiiil.num_agpr, 0
	.set _ZL18flash_attn_ext_vecILi256ELi2EL9ggml_type2ELS0_2ELb0EEvPKcS2_S2_S2_S2_PKiPfP15HIP_vector_typeIfLj2EEffffjfiS6_IjLj3EEiiiiiiiiiiiliiliiiiil.numbered_sgpr, 100
	.set _ZL18flash_attn_ext_vecILi256ELi2EL9ggml_type2ELS0_2ELb0EEvPKcS2_S2_S2_S2_PKiPfP15HIP_vector_typeIfLj2EEffffjfiS6_IjLj3EEiiiiiiiiiiiliiliiiiil.num_named_barrier, 0
	.set _ZL18flash_attn_ext_vecILi256ELi2EL9ggml_type2ELS0_2ELb0EEvPKcS2_S2_S2_S2_PKiPfP15HIP_vector_typeIfLj2EEffffjfiS6_IjLj3EEiiiiiiiiiiiliiliiiiil.private_seg_size, 1288
	.set _ZL18flash_attn_ext_vecILi256ELi2EL9ggml_type2ELS0_2ELb0EEvPKcS2_S2_S2_S2_PKiPfP15HIP_vector_typeIfLj2EEffffjfiS6_IjLj3EEiiiiiiiiiiiliiliiiiil.uses_vcc, 1
	.set _ZL18flash_attn_ext_vecILi256ELi2EL9ggml_type2ELS0_2ELb0EEvPKcS2_S2_S2_S2_PKiPfP15HIP_vector_typeIfLj2EEffffjfiS6_IjLj3EEiiiiiiiiiiiliiliiiiil.uses_flat_scratch, 0
	.set _ZL18flash_attn_ext_vecILi256ELi2EL9ggml_type2ELS0_2ELb0EEvPKcS2_S2_S2_S2_PKiPfP15HIP_vector_typeIfLj2EEffffjfiS6_IjLj3EEiiiiiiiiiiiliiliiiiil.has_dyn_sized_stack, 0
	.set _ZL18flash_attn_ext_vecILi256ELi2EL9ggml_type2ELS0_2ELb0EEvPKcS2_S2_S2_S2_PKiPfP15HIP_vector_typeIfLj2EEffffjfiS6_IjLj3EEiiiiiiiiiiiliiliiiiil.has_recursion, 0
	.set _ZL18flash_attn_ext_vecILi256ELi2EL9ggml_type2ELS0_2ELb0EEvPKcS2_S2_S2_S2_PKiPfP15HIP_vector_typeIfLj2EEffffjfiS6_IjLj3EEiiiiiiiiiiiliiliiiiil.has_indirect_call, 0
	.section	.AMDGPU.csdata,"",@progbits
; Kernel info:
; codeLenInByte = 50076
; TotalNumSgprs: 102
; NumVgprs: 256
; ScratchSize: 1288
; MemoryBound: 0
; FloatMode: 240
; IeeeMode: 1
; LDSByteSize: 6656 bytes/workgroup (compile time only)
; SGPRBlocks: 0
; VGPRBlocks: 31
; NumSGPRsForWavesPerEU: 102
; NumVGPRsForWavesPerEU: 256
; Occupancy: 4
; WaveLimiterHint : 0
; COMPUTE_PGM_RSRC2:SCRATCH_EN: 1
; COMPUTE_PGM_RSRC2:USER_SGPR: 8
; COMPUTE_PGM_RSRC2:TRAP_HANDLER: 0
; COMPUTE_PGM_RSRC2:TGID_X_EN: 1
; COMPUTE_PGM_RSRC2:TGID_Y_EN: 1
; COMPUTE_PGM_RSRC2:TGID_Z_EN: 1
; COMPUTE_PGM_RSRC2:TIDIG_COMP_CNT: 2
	.section	.text._ZL33flash_attn_stream_k_fixup_uniformILi256ELi2ELi1EEvPfPK15HIP_vector_typeIfLj2EEiiiiiiS1_IjLj3EES5_S5_,"axG",@progbits,_ZL33flash_attn_stream_k_fixup_uniformILi256ELi2ELi1EEvPfPK15HIP_vector_typeIfLj2EEiiiiiiS1_IjLj3EES5_S5_,comdat
	.globl	_ZL33flash_attn_stream_k_fixup_uniformILi256ELi2ELi1EEvPfPK15HIP_vector_typeIfLj2EEiiiiiiS1_IjLj3EES5_S5_ ; -- Begin function _ZL33flash_attn_stream_k_fixup_uniformILi256ELi2ELi1EEvPfPK15HIP_vector_typeIfLj2EEiiiiiiS1_IjLj3EES5_S5_
	.p2align	8
	.type	_ZL33flash_attn_stream_k_fixup_uniformILi256ELi2ELi1EEvPfPK15HIP_vector_typeIfLj2EEiiiiiiS1_IjLj3EES5_S5_,@function
_ZL33flash_attn_stream_k_fixup_uniformILi256ELi2ELi1EEvPfPK15HIP_vector_typeIfLj2EEiiiiiiS1_IjLj3EES5_S5_: ; @_ZL33flash_attn_stream_k_fixup_uniformILi256ELi2ELi1EEvPfPK15HIP_vector_typeIfLj2EEiiiiiiS1_IjLj3EES5_S5_
; %bb.0:
	s_clause 0x2
	s_load_dwordx8 s[12:19], s[4:5], 0x1c
	s_load_dwordx4 s[20:23], s[4:5], 0x3c
	s_load_dwordx2 s[10:11], s[4:5], 0x10
	s_waitcnt lgkmcnt(0)
	s_mul_hi_u32 s0, s15, s6
	s_add_i32 s0, s6, s0
	s_lshr_b32 s0, s0, s16
	s_mul_i32 s1, s0, s17
	s_sub_i32 s2, s6, s1
	s_mul_hi_u32 s1, s2, s18
	s_add_i32 s1, s2, s1
	s_lshr_b32 s1, s1, s19
	s_mul_i32 s3, s1, s20
	s_sub_i32 s2, s2, s3
	;; [unrolled: 5-line block ×3, first 2 shown]
	s_lshl_b32 s2, s15, 1
	s_add_i32 s2, s2, s7
	s_cmp_lt_i32 s2, s10
	s_cselect_b32 s2, -1, 0
	s_add_i32 s3, s9, s8
	s_cmp_lt_i32 s3, s13
	s_cselect_b32 s3, -1, 0
	s_and_b32 s2, s2, s3
	s_andn2_b32 vcc_lo, exec_lo, s2
	s_cbranch_vccnz .LBB29_6
; %bb.1:
	s_mul_i32 s0, s0, s10
	s_mul_i32 s10, s1, s13
	s_add_i32 s0, s0, s7
	s_mul_i32 s0, s0, s11
	s_add_i32 s13, s0, s8
	s_load_dwordx4 s[0:3], s[4:5], 0x0
	s_add_i32 s4, s13, s10
	s_mul_i32 s5, s11, s15
	s_add_i32 s4, s4, s9
	s_lshl_b32 s5, s5, 9
	s_lshl_b32 s4, s4, 8
	s_add_i32 s8, s7, s8
	s_add_i32 s5, s5, s4
	s_mul_i32 s4, s14, s6
	v_or_b32_e32 v1, s5, v0
	s_add_i32 s9, s4, s14
	v_ashrrev_i32_e32 v2, 31, v1
	v_lshlrev_b64 v[1:2], 2, v[1:2]
	s_waitcnt lgkmcnt(0)
	v_add_co_u32 v1, vcc_lo, s0, v1
	v_add_co_ci_u32_e64 v2, null, s1, v2, vcc_lo
	s_lshl_b32 s0, s9, 1
	s_add_i32 s0, s8, s0
	global_load_dword v5, v[1:2], off
	s_add_i32 s0, s0, -2
	s_ashr_i32 s1, s0, 31
	s_lshl_b64 s[0:1], s[0:1], 3
	s_add_u32 s0, s2, s0
	s_addc_u32 s1, s3, s1
	s_add_i32 s5, s9, -2
	s_load_dword s10, s[0:1], 0x4
	s_cmp_lt_i32 s5, s4
	s_cbranch_scc1 .LBB29_4
; %bb.2:
	s_lshl_b32 s16, s12, 3
	s_load_dword s11, s[0:1], 0x0
	s_ashr_i32 s17, s16, 31
	s_waitcnt lgkmcnt(0)
	v_mov_b32_e32 v6, s10
	s_lshl_b64 s[0:1], s[16:17], 2
	s_add_u32 s5, s2, s0
	s_addc_u32 s7, s3, s1
	s_add_i32 s6, s6, 1
	s_lshl_b32 s1, s8, 8
	s_mul_i32 s0, s14, s6
	s_lshl_b32 s6, s0, 9
	s_lshl_b32 s0, s0, 1
	s_add_i32 s1, s1, s6
	s_add_i32 s0, s8, s0
	v_or_b32_e32 v0, s1, v0
	s_lshl_b32 s1, s12, 1
	s_add_i32 s6, s9, -1
	s_add_i32 s0, s0, s1
	v_add_nc_u32_e32 v3, 0xfffffc00, v0
	v_mov_b32_e32 v0, s11
	s_add_i32 s0, s0, -4
.LBB29_3:                               ; =>This Inner Loop Header: Depth=1
	v_ashrrev_i32_e32 v4, 31, v3
	s_ashr_i32 s1, s0, 31
	s_lshl_b64 s[8:9], s[0:1], 3
	s_add_u32 s8, s2, s8
	v_lshlrev_b64 v[7:8], 2, v[3:4]
	s_addc_u32 s9, s3, s9
	v_add_nc_u32_e32 v3, 0xfffffe00, v3
	s_add_i32 s6, s6, -1
	s_add_i32 s0, s0, -2
	s_cmp_le_i32 s6, s4
	v_add_co_u32 v7, vcc_lo, s5, v7
	v_add_co_ci_u32_e64 v8, null, s7, v8, vcc_lo
	s_load_dwordx2 s[8:9], s[8:9], 0x0
	global_load_dword v4, v[7:8], off
	v_max_f32_e32 v7, v0, v0
	s_waitcnt lgkmcnt(0)
	v_max_f32_e64 v8, s8, s8
	v_max_f32_e32 v7, v7, v8
	v_sub_f32_e32 v8, s8, v7
	v_sub_f32_e32 v0, v0, v7
	v_mul_f32_e32 v9, 0x3fb8aa3b, v8
	v_mul_f32_e32 v12, 0x3fb8aa3b, v0
	v_cmp_ngt_f32_e32 vcc_lo, 0xc2ce8ed0, v8
	v_fma_f32 v10, 0x3fb8aa3b, v8, -v9
	v_rndne_f32_e32 v11, v9
	v_fma_f32 v13, 0x3fb8aa3b, v0, -v12
	v_rndne_f32_e32 v14, v12
	v_fmac_f32_e32 v10, 0x32a5705f, v8
	v_sub_f32_e32 v9, v9, v11
	v_fmac_f32_e32 v13, 0x32a5705f, v0
	v_cvt_i32_f32_e32 v11, v11
	v_add_f32_e32 v9, v9, v10
	v_sub_f32_e32 v10, v12, v14
	v_exp_f32_e32 v9, v9
	v_add_f32_e32 v10, v10, v13
	v_exp_f32_e32 v10, v10
	v_ldexp_f32 v9, v9, v11
	v_cvt_i32_f32_e32 v11, v14
	v_cndmask_b32_e32 v9, 0, v9, vcc_lo
	v_cmp_nlt_f32_e32 vcc_lo, 0x42b17218, v8
	v_ldexp_f32 v10, v10, v11
	v_mov_b32_e32 v11, v6
	v_cndmask_b32_e32 v9, 0x7f800000, v9, vcc_lo
	v_cmp_ngt_f32_e32 vcc_lo, 0xc2ce8ed0, v0
	v_cndmask_b32_e32 v10, 0, v10, vcc_lo
	v_cmp_le_f32_e32 vcc_lo, 0xc1a00000, v8
	v_cndmask_b32_e32 v8, 0, v9, vcc_lo
	v_cmp_nlt_f32_e32 vcc_lo, 0x42b17218, v0
	s_waitcnt vmcnt(1)
	v_mov_b32_e32 v9, v5
	v_cndmask_b32_e32 v5, 0x7f800000, v10, vcc_lo
	v_mul_f32_e32 v10, s9, v8
	v_cmp_le_f32_e32 vcc_lo, 0xc1a00000, v0
	v_mov_b32_e32 v0, v7
	v_mov_b32_e32 v6, v10
	v_cndmask_b32_e32 v12, 0, v5, vcc_lo
	v_fmac_f32_e32 v6, v11, v12
	s_waitcnt vmcnt(0)
	v_mul_f32_e32 v5, v4, v8
	v_fmac_f32_e32 v5, v9, v12
	s_cbranch_scc0 .LBB29_3
	s_branch .LBB29_5
.LBB29_4:
	s_waitcnt lgkmcnt(0)
	v_mov_b32_e32 v6, s10
.LBB29_5:
	s_waitcnt vmcnt(0)
	v_div_scale_f32 v0, null, v6, v6, v5
	v_rcp_f32_e32 v3, v0
	v_fma_f32 v4, -v0, v3, 1.0
	v_fmac_f32_e32 v3, v4, v3
	v_div_scale_f32 v4, vcc_lo, v5, v6, v5
	v_mul_f32_e32 v7, v4, v3
	v_fma_f32 v8, -v0, v7, v4
	v_fmac_f32_e32 v7, v8, v3
	v_fma_f32 v0, -v0, v7, v4
	v_div_fmas_f32 v0, v0, v3, v7
	v_div_fixup_f32 v0, v0, v6, v5
	global_store_dword v[1:2], v0, off
.LBB29_6:
	s_endpgm
	.section	.rodata,"a",@progbits
	.p2align	6, 0x0
	.amdhsa_kernel _ZL33flash_attn_stream_k_fixup_uniformILi256ELi2ELi1EEvPfPK15HIP_vector_typeIfLj2EEiiiiiiS1_IjLj3EES5_S5_
		.amdhsa_group_segment_fixed_size 0
		.amdhsa_private_segment_fixed_size 0
		.amdhsa_kernarg_size 76
		.amdhsa_user_sgpr_count 6
		.amdhsa_user_sgpr_private_segment_buffer 1
		.amdhsa_user_sgpr_dispatch_ptr 0
		.amdhsa_user_sgpr_queue_ptr 0
		.amdhsa_user_sgpr_kernarg_segment_ptr 1
		.amdhsa_user_sgpr_dispatch_id 0
		.amdhsa_user_sgpr_flat_scratch_init 0
		.amdhsa_user_sgpr_private_segment_size 0
		.amdhsa_wavefront_size32 1
		.amdhsa_uses_dynamic_stack 0
		.amdhsa_system_sgpr_private_segment_wavefront_offset 0
		.amdhsa_system_sgpr_workgroup_id_x 1
		.amdhsa_system_sgpr_workgroup_id_y 1
		.amdhsa_system_sgpr_workgroup_id_z 1
		.amdhsa_system_sgpr_workgroup_info 0
		.amdhsa_system_vgpr_workitem_id 0
		.amdhsa_next_free_vgpr 15
		.amdhsa_next_free_sgpr 24
		.amdhsa_reserve_vcc 1
		.amdhsa_reserve_flat_scratch 0
		.amdhsa_float_round_mode_32 0
		.amdhsa_float_round_mode_16_64 0
		.amdhsa_float_denorm_mode_32 3
		.amdhsa_float_denorm_mode_16_64 3
		.amdhsa_dx10_clamp 1
		.amdhsa_ieee_mode 1
		.amdhsa_fp16_overflow 0
		.amdhsa_workgroup_processor_mode 1
		.amdhsa_memory_ordered 1
		.amdhsa_forward_progress 1
		.amdhsa_shared_vgpr_count 0
		.amdhsa_exception_fp_ieee_invalid_op 0
		.amdhsa_exception_fp_denorm_src 0
		.amdhsa_exception_fp_ieee_div_zero 0
		.amdhsa_exception_fp_ieee_overflow 0
		.amdhsa_exception_fp_ieee_underflow 0
		.amdhsa_exception_fp_ieee_inexact 0
		.amdhsa_exception_int_div_zero 0
	.end_amdhsa_kernel
	.section	.text._ZL33flash_attn_stream_k_fixup_uniformILi256ELi2ELi1EEvPfPK15HIP_vector_typeIfLj2EEiiiiiiS1_IjLj3EES5_S5_,"axG",@progbits,_ZL33flash_attn_stream_k_fixup_uniformILi256ELi2ELi1EEvPfPK15HIP_vector_typeIfLj2EEiiiiiiS1_IjLj3EES5_S5_,comdat
.Lfunc_end29:
	.size	_ZL33flash_attn_stream_k_fixup_uniformILi256ELi2ELi1EEvPfPK15HIP_vector_typeIfLj2EEiiiiiiS1_IjLj3EES5_S5_, .Lfunc_end29-_ZL33flash_attn_stream_k_fixup_uniformILi256ELi2ELi1EEvPfPK15HIP_vector_typeIfLj2EEiiiiiiS1_IjLj3EES5_S5_
                                        ; -- End function
	.set _ZL33flash_attn_stream_k_fixup_uniformILi256ELi2ELi1EEvPfPK15HIP_vector_typeIfLj2EEiiiiiiS1_IjLj3EES5_S5_.num_vgpr, 15
	.set _ZL33flash_attn_stream_k_fixup_uniformILi256ELi2ELi1EEvPfPK15HIP_vector_typeIfLj2EEiiiiiiS1_IjLj3EES5_S5_.num_agpr, 0
	.set _ZL33flash_attn_stream_k_fixup_uniformILi256ELi2ELi1EEvPfPK15HIP_vector_typeIfLj2EEiiiiiiS1_IjLj3EES5_S5_.numbered_sgpr, 24
	.set _ZL33flash_attn_stream_k_fixup_uniformILi256ELi2ELi1EEvPfPK15HIP_vector_typeIfLj2EEiiiiiiS1_IjLj3EES5_S5_.num_named_barrier, 0
	.set _ZL33flash_attn_stream_k_fixup_uniformILi256ELi2ELi1EEvPfPK15HIP_vector_typeIfLj2EEiiiiiiS1_IjLj3EES5_S5_.private_seg_size, 0
	.set _ZL33flash_attn_stream_k_fixup_uniformILi256ELi2ELi1EEvPfPK15HIP_vector_typeIfLj2EEiiiiiiS1_IjLj3EES5_S5_.uses_vcc, 1
	.set _ZL33flash_attn_stream_k_fixup_uniformILi256ELi2ELi1EEvPfPK15HIP_vector_typeIfLj2EEiiiiiiS1_IjLj3EES5_S5_.uses_flat_scratch, 0
	.set _ZL33flash_attn_stream_k_fixup_uniformILi256ELi2ELi1EEvPfPK15HIP_vector_typeIfLj2EEiiiiiiS1_IjLj3EES5_S5_.has_dyn_sized_stack, 0
	.set _ZL33flash_attn_stream_k_fixup_uniformILi256ELi2ELi1EEvPfPK15HIP_vector_typeIfLj2EEiiiiiiS1_IjLj3EES5_S5_.has_recursion, 0
	.set _ZL33flash_attn_stream_k_fixup_uniformILi256ELi2ELi1EEvPfPK15HIP_vector_typeIfLj2EEiiiiiiS1_IjLj3EES5_S5_.has_indirect_call, 0
	.section	.AMDGPU.csdata,"",@progbits
; Kernel info:
; codeLenInByte = 828
; TotalNumSgprs: 26
; NumVgprs: 15
; ScratchSize: 0
; MemoryBound: 0
; FloatMode: 240
; IeeeMode: 1
; LDSByteSize: 0 bytes/workgroup (compile time only)
; SGPRBlocks: 0
; VGPRBlocks: 1
; NumSGPRsForWavesPerEU: 26
; NumVGPRsForWavesPerEU: 15
; Occupancy: 16
; WaveLimiterHint : 0
; COMPUTE_PGM_RSRC2:SCRATCH_EN: 0
; COMPUTE_PGM_RSRC2:USER_SGPR: 6
; COMPUTE_PGM_RSRC2:TRAP_HANDLER: 0
; COMPUTE_PGM_RSRC2:TGID_X_EN: 1
; COMPUTE_PGM_RSRC2:TGID_Y_EN: 1
; COMPUTE_PGM_RSRC2:TGID_Z_EN: 1
; COMPUTE_PGM_RSRC2:TIDIG_COMP_CNT: 0
	.section	.text._ZL33flash_attn_stream_k_fixup_generalILi256ELi2ELi1EEvPfPK15HIP_vector_typeIfLj2EEiiiiS1_IjLj3EES5_S5_S5_,"axG",@progbits,_ZL33flash_attn_stream_k_fixup_generalILi256ELi2ELi1EEvPfPK15HIP_vector_typeIfLj2EEiiiiS1_IjLj3EES5_S5_S5_,comdat
	.globl	_ZL33flash_attn_stream_k_fixup_generalILi256ELi2ELi1EEvPfPK15HIP_vector_typeIfLj2EEiiiiS1_IjLj3EES5_S5_S5_ ; -- Begin function _ZL33flash_attn_stream_k_fixup_generalILi256ELi2ELi1EEvPfPK15HIP_vector_typeIfLj2EEiiiiS1_IjLj3EES5_S5_S5_
	.p2align	8
	.type	_ZL33flash_attn_stream_k_fixup_generalILi256ELi2ELi1EEvPfPK15HIP_vector_typeIfLj2EEiiiiS1_IjLj3EES5_S5_S5_,@function
_ZL33flash_attn_stream_k_fixup_generalILi256ELi2ELi1EEvPfPK15HIP_vector_typeIfLj2EEiiiiS1_IjLj3EES5_S5_S5_: ; @_ZL33flash_attn_stream_k_fixup_generalILi256ELi2ELi1EEvPfPK15HIP_vector_typeIfLj2EEiiiiS1_IjLj3EES5_S5_S5_
; %bb.0:
	s_clause 0x1
	s_load_dwordx4 s[0:3], s[4:5], 0x10
	s_load_dword s9, s[4:5], 0x50
	s_mov_b32 s16, 0
	s_waitcnt lgkmcnt(0)
	s_mul_hi_i32 s17, s3, s6
	s_mul_i32 s18, s3, s6
	s_cmp_lg_u64 s[16:17], 0
	s_cbranch_scc0 .LBB30_21
; %bb.1:
	s_add_u32 s10, s9, 0
	s_addc_u32 s11, 0, 0
	s_xor_b64 s[10:11], s[10:11], 0
	v_cvt_f32_u32_e32 v1, s10
	v_cvt_f32_u32_e32 v2, s11
	s_sub_u32 s14, 0, s10
	s_subb_u32 s15, 0, s11
	v_fmamk_f32 v1, v2, 0x4f800000, v1
	v_rcp_f32_e32 v1, v1
	v_mul_f32_e32 v1, 0x5f7ffffc, v1
	v_mul_f32_e32 v2, 0x2f800000, v1
	v_trunc_f32_e32 v2, v2
	v_fmamk_f32 v1, v2, 0xcf800000, v1
	v_cvt_u32_f32_e32 v2, v2
	v_cvt_u32_f32_e32 v1, v1
	v_readfirstlane_b32 s12, v2
	v_readfirstlane_b32 s13, v1
	s_mul_i32 s19, s14, s12
	s_mul_hi_u32 s21, s14, s13
	s_mul_i32 s20, s15, s13
	s_add_i32 s19, s21, s19
	s_mul_i32 s22, s14, s13
	s_add_i32 s19, s19, s20
	s_mul_hi_u32 s21, s13, s22
	s_mul_i32 s24, s13, s19
	s_mul_hi_u32 s23, s12, s22
	s_mul_i32 s20, s12, s22
	s_mul_hi_u32 s22, s13, s19
	s_add_u32 s21, s21, s24
	s_addc_u32 s22, 0, s22
	s_mul_hi_u32 s25, s12, s19
	s_add_u32 s20, s21, s20
	s_mul_i32 s19, s12, s19
	s_addc_u32 s20, s22, s23
	s_addc_u32 s21, s25, 0
	s_add_u32 s19, s20, s19
	s_addc_u32 s20, 0, s21
	s_add_u32 s13, s13, s19
	s_cselect_b32 s19, -1, 0
	s_mul_hi_u32 s21, s14, s13
	s_cmp_lg_u32 s19, 0
	s_mul_i32 s19, s14, s13
	s_addc_u32 s12, s12, s20
	s_mul_i32 s15, s15, s13
	s_mul_i32 s14, s14, s12
	s_mul_hi_u32 s20, s13, s19
	s_add_i32 s14, s21, s14
	s_mul_hi_u32 s21, s12, s19
	s_add_i32 s14, s14, s15
	s_mul_i32 s15, s12, s19
	s_mul_i32 s23, s13, s14
	s_mul_hi_u32 s22, s13, s14
	s_add_u32 s20, s20, s23
	s_addc_u32 s22, 0, s22
	s_mul_hi_u32 s19, s12, s14
	s_add_u32 s15, s20, s15
	s_mul_i32 s14, s12, s14
	s_addc_u32 s15, s22, s21
	s_addc_u32 s19, s19, 0
	s_add_u32 s14, s15, s14
	s_addc_u32 s15, 0, s19
	s_add_u32 s19, s13, s14
	s_cselect_b32 s13, -1, 0
	s_cmp_lg_u32 s13, 0
	s_addc_u32 s20, s12, s15
	s_ashr_i32 s12, s17, 31
	s_add_u32 s14, s18, s12
	s_mov_b32 s13, s12
	s_addc_u32 s15, s17, s12
	s_xor_b64 s[14:15], s[14:15], s[12:13]
	s_mul_i32 s21, s14, s20
	s_mul_hi_u32 s22, s14, s19
	s_mul_hi_u32 s17, s14, s20
	s_mul_hi_u32 s24, s15, s19
	s_mul_i32 s19, s15, s19
	s_add_u32 s21, s22, s21
	s_addc_u32 s17, 0, s17
	s_mul_hi_u32 s23, s15, s20
	s_add_u32 s19, s21, s19
	s_mul_i32 s20, s15, s20
	s_addc_u32 s17, s17, s24
	s_addc_u32 s19, s23, 0
	s_add_u32 s17, s17, s20
	s_addc_u32 s19, 0, s19
	s_mul_hi_u32 s20, s10, s17
	s_mul_i32 s21, s10, s19
	s_mul_i32 s22, s11, s17
	s_add_i32 s20, s20, s21
	s_mul_i32 s21, s10, s17
	s_add_i32 s20, s20, s22
	s_sub_i32 s22, s15, s20
	s_sub_u32 s14, s14, s21
	s_cselect_b32 s21, -1, 0
	s_cmp_lg_u32 s21, 0
	s_subb_u32 s22, s22, s11
	s_sub_u32 s23, s14, s10
	s_cselect_b32 s24, -1, 0
	s_cmp_lg_u32 s24, 0
	s_subb_u32 s22, s22, 0
	s_cmp_ge_u32 s22, s11
	s_cselect_b32 s24, -1, 0
	s_cmp_ge_u32 s23, s10
	s_cselect_b32 s23, -1, 0
	s_cmp_eq_u32 s22, s11
	s_cselect_b32 s22, s23, s24
	s_add_u32 s23, s17, 1
	s_addc_u32 s24, s19, 0
	s_add_u32 s25, s17, 2
	s_addc_u32 s26, s19, 0
	s_cmp_lg_u32 s22, 0
	s_cselect_b32 s22, s25, s23
	s_cselect_b32 s23, s26, s24
	s_cmp_lg_u32 s21, 0
	s_subb_u32 s15, s15, s20
	s_cmp_ge_u32 s15, s11
	s_cselect_b32 s20, -1, 0
	s_cmp_ge_u32 s14, s10
	s_cselect_b32 s10, -1, 0
	s_cmp_eq_u32 s15, s11
	s_cselect_b32 s10, s10, s20
	s_cmp_lg_u32 s10, 0
	s_cselect_b32 s11, s23, s19
	s_cselect_b32 s10, s22, s17
	s_xor_b64 s[12:13], s[12:13], 0
	s_xor_b64 s[10:11], s[10:11], s[12:13]
	s_sub_u32 s10, s10, s12
	s_load_dwordx4 s[12:15], s[4:5], 0x44
	s_andn2_b32 vcc_lo, exec_lo, s16
	s_cbranch_vccnz .LBB30_3
.LBB30_2:
	v_cvt_f32_u32_e32 v1, s9
	s_sub_i32 s11, 0, s9
	v_rcp_iflag_f32_e32 v1, v1
	v_mul_f32_e32 v1, 0x4f7ffffe, v1
	v_cvt_u32_f32_e32 v1, v1
	v_readfirstlane_b32 s10, v1
	s_mul_i32 s11, s11, s10
	s_mul_hi_u32 s11, s10, s11
	s_add_i32 s10, s10, s11
	s_mul_hi_u32 s10, s18, s10
	s_mul_i32 s11, s10, s9
	s_waitcnt lgkmcnt(0)
	s_add_i32 s15, s10, 1
	s_sub_i32 s11, s18, s11
	s_sub_i32 s16, s11, s9
	s_cmp_ge_u32 s11, s9
	s_cselect_b32 s10, s15, s10
	s_cselect_b32 s11, s16, s11
	s_add_i32 s15, s10, 1
	s_cmp_ge_u32 s11, s9
	s_cselect_b32 s10, s15, s10
.LBB30_3:
	s_add_i32 s11, s6, 1
	s_mov_b32 s16, 0
	s_mul_hi_i32 s17, s3, s11
	s_mul_i32 s11, s3, s11
	s_cmp_lg_u64 s[16:17], 0
	s_cbranch_scc0 .LBB30_22
; %bb.4:
	s_add_u32 s18, s9, 0
	s_addc_u32 s19, 0, 0
	s_xor_b64 s[18:19], s[18:19], 0
	v_cvt_f32_u32_e32 v1, s18
	v_cvt_f32_u32_e32 v2, s19
	s_sub_u32 s21, 0, s18
	s_subb_u32 s22, 0, s19
	v_fmamk_f32 v1, v2, 0x4f800000, v1
	v_rcp_f32_e32 v1, v1
	v_mul_f32_e32 v1, 0x5f7ffffc, v1
	v_mul_f32_e32 v2, 0x2f800000, v1
	v_trunc_f32_e32 v2, v2
	v_fmamk_f32 v1, v2, 0xcf800000, v1
	v_cvt_u32_f32_e32 v2, v2
	v_cvt_u32_f32_e32 v1, v1
	s_waitcnt lgkmcnt(0)
	v_readfirstlane_b32 s15, v2
	v_readfirstlane_b32 s20, v1
	s_mul_i32 s23, s21, s15
	s_mul_hi_u32 s25, s21, s20
	s_mul_i32 s24, s22, s20
	s_add_i32 s23, s25, s23
	s_mul_i32 s26, s21, s20
	s_add_i32 s23, s23, s24
	s_mul_hi_u32 s25, s20, s26
	s_mul_i32 s28, s20, s23
	s_mul_hi_u32 s27, s15, s26
	s_mul_i32 s24, s15, s26
	s_mul_hi_u32 s26, s20, s23
	s_add_u32 s25, s25, s28
	s_addc_u32 s26, 0, s26
	s_mul_hi_u32 s29, s15, s23
	s_add_u32 s24, s25, s24
	s_mul_i32 s23, s15, s23
	s_addc_u32 s24, s26, s27
	s_addc_u32 s25, s29, 0
	s_add_u32 s23, s24, s23
	s_addc_u32 s24, 0, s25
	s_add_u32 s20, s20, s23
	s_cselect_b32 s23, -1, 0
	s_mul_hi_u32 s25, s21, s20
	s_cmp_lg_u32 s23, 0
	s_mul_i32 s23, s21, s20
	s_addc_u32 s15, s15, s24
	s_mul_i32 s22, s22, s20
	s_mul_i32 s21, s21, s15
	s_mul_hi_u32 s24, s20, s23
	s_add_i32 s21, s25, s21
	s_mul_hi_u32 s25, s15, s23
	s_add_i32 s21, s21, s22
	s_mul_i32 s22, s15, s23
	s_mul_i32 s27, s20, s21
	s_mul_hi_u32 s26, s20, s21
	s_add_u32 s24, s24, s27
	s_addc_u32 s26, 0, s26
	s_mul_hi_u32 s23, s15, s21
	s_add_u32 s22, s24, s22
	s_mul_i32 s21, s15, s21
	s_addc_u32 s22, s26, s25
	s_addc_u32 s23, s23, 0
	s_add_u32 s21, s22, s21
	s_addc_u32 s22, 0, s23
	s_add_u32 s24, s20, s21
	s_cselect_b32 s20, -1, 0
	s_cmp_lg_u32 s20, 0
	s_addc_u32 s15, s15, s22
	s_ashr_i32 s20, s17, 31
	s_add_u32 s22, s11, s20
	s_mov_b32 s21, s20
	s_addc_u32 s23, s17, s20
	s_xor_b64 s[22:23], s[22:23], s[20:21]
	s_mul_i32 s25, s22, s15
	s_mul_hi_u32 s26, s22, s24
	s_mul_hi_u32 s17, s22, s15
	;; [unrolled: 1-line block ×3, first 2 shown]
	s_mul_i32 s24, s23, s24
	s_add_u32 s25, s26, s25
	s_addc_u32 s17, 0, s17
	s_mul_hi_u32 s27, s23, s15
	s_add_u32 s24, s25, s24
	s_mul_i32 s15, s23, s15
	s_addc_u32 s17, s17, s28
	s_addc_u32 s24, s27, 0
	s_add_u32 s15, s17, s15
	s_addc_u32 s17, 0, s24
	s_mul_hi_u32 s24, s18, s15
	s_mul_i32 s25, s18, s17
	s_mul_i32 s26, s19, s15
	s_add_i32 s24, s24, s25
	s_mul_i32 s25, s18, s15
	s_add_i32 s24, s24, s26
	s_sub_i32 s26, s23, s24
	s_sub_u32 s22, s22, s25
	s_cselect_b32 s25, -1, 0
	s_cmp_lg_u32 s25, 0
	s_subb_u32 s26, s26, s19
	s_sub_u32 s27, s22, s18
	s_cselect_b32 s28, -1, 0
	s_cmp_lg_u32 s28, 0
	s_subb_u32 s26, s26, 0
	s_cmp_ge_u32 s26, s19
	s_cselect_b32 s28, -1, 0
	s_cmp_ge_u32 s27, s18
	s_cselect_b32 s27, -1, 0
	s_cmp_eq_u32 s26, s19
	s_cselect_b32 s26, s27, s28
	s_add_u32 s27, s15, 1
	s_addc_u32 s28, s17, 0
	s_add_u32 s29, s15, 2
	s_addc_u32 s30, s17, 0
	s_cmp_lg_u32 s26, 0
	s_cselect_b32 s26, s29, s27
	s_cselect_b32 s27, s30, s28
	s_cmp_lg_u32 s25, 0
	s_subb_u32 s23, s23, s24
	s_cmp_ge_u32 s23, s19
	s_cselect_b32 s24, -1, 0
	s_cmp_ge_u32 s22, s18
	s_cselect_b32 s18, -1, 0
	s_cmp_eq_u32 s23, s19
	s_cselect_b32 s18, s18, s24
	s_cmp_lg_u32 s18, 0
	s_cselect_b32 s19, s27, s17
	s_cselect_b32 s18, s26, s15
	s_xor_b64 s[20:21], s[20:21], 0
	s_xor_b64 s[18:19], s[18:19], s[20:21]
	s_sub_u32 s18, s18, s20
	s_andn2_b32 vcc_lo, exec_lo, s16
	s_cbranch_vccnz .LBB30_6
.LBB30_5:
	v_cvt_f32_u32_e32 v1, s9
	s_sub_i32 s16, 0, s9
	v_rcp_iflag_f32_e32 v1, v1
	v_mul_f32_e32 v1, 0x4f7ffffe, v1
	v_cvt_u32_f32_e32 v1, v1
	s_waitcnt lgkmcnt(0)
	v_readfirstlane_b32 s15, v1
	s_mul_i32 s16, s16, s15
	s_mul_hi_u32 s16, s15, s16
	s_add_i32 s15, s15, s16
	s_mul_hi_u32 s15, s11, s15
	s_mul_i32 s16, s15, s9
	s_sub_i32 s11, s11, s16
	s_add_i32 s16, s15, 1
	s_sub_i32 s17, s11, s9
	s_cmp_ge_u32 s11, s9
	s_cselect_b32 s15, s16, s15
	s_cselect_b32 s11, s17, s11
	s_add_i32 s16, s15, 1
	s_cmp_ge_u32 s11, s9
	s_cselect_b32 s18, s16, s15
.LBB30_6:
	s_cmp_eq_u32 s10, s18
	s_waitcnt lgkmcnt(0)
	s_mul_hi_u32 s11, s10, s12
	s_cselect_b32 s15, -1, 0
	s_add_i32 s11, s11, s10
	s_lshr_b32 s11, s11, s13
	s_mul_i32 s16, s11, s14
	s_cmp_eq_u32 s16, s10
	s_mul_hi_u32 s16, s18, s12
	s_cselect_b32 s17, -1, 0
	s_add_i32 s16, s16, s18
	s_lshr_b32 s16, s16, s13
	s_cmp_eq_u32 s11, s16
	s_mul_i32 s16, s16, s14
	s_cselect_b32 s19, -1, 0
	s_cmp_lg_u32 s16, s18
	s_cselect_b32 s16, -1, 0
	s_or_b32 s15, s15, s17
	s_and_b32 s16, s19, s16
	s_or_b32 s15, s15, s16
	s_and_b32 vcc_lo, exec_lo, s15
	s_cbranch_vccnz .LBB30_24
; %bb.7:
	s_load_dwordx8 s[20:27], s[4:5], 0x20
	s_waitcnt lgkmcnt(0)
	s_mul_hi_u32 s15, s10, s20
	s_add_i32 s15, s15, s10
	s_lshr_b32 s20, s15, s21
	s_load_dword s15, s[4:5], 0x40
	s_mul_i32 s16, s20, s22
	s_sub_i32 s16, s10, s16
	s_mul_hi_u32 s17, s16, s23
	s_add_i32 s17, s16, s17
	s_lshr_b32 s22, s17, s24
	s_mul_i32 s17, s22, s25
	s_sub_i32 s16, s16, s17
	s_mul_hi_u32 s17, s16, s26
	s_add_i32 s17, s16, s17
	s_lshr_b32 s23, s17, s27
	s_waitcnt lgkmcnt(0)
	s_mul_i32 s15, s23, s15
	s_sub_i32 s15, s16, s15
	s_mul_hi_u32 s16, s15, s12
	s_add_i32 s15, s15, s16
	s_lshr_b32 s24, s15, s13
	s_lshl_b32 s15, s24, 1
	s_add_i32 s15, s15, s7
	s_cmp_lt_i32 s15, s0
	s_cselect_b32 s15, -1, 0
	s_add_i32 s16, s23, s8
	s_cmp_lt_i32 s16, s2
	s_cselect_b32 s16, -1, 0
	s_and_b32 s15, s15, s16
	s_andn2_b32 vcc_lo, exec_lo, s15
	s_cbranch_vccnz .LBB30_24
; %bb.8:
	s_load_dwordx4 s[16:19], s[4:5], 0x0
	s_mov_b32 s4, 0
	s_lshl_b32 s26, s9, 3
	s_mov_b32 s27, s4
	s_add_i32 s15, s7, s8
	s_lshl_b64 s[26:27], s[26:27], 2
	s_mul_i32 s0, s20, s0
	s_mul_i32 s22, s22, s2
	v_cvt_f32_u32_e32 v4, s9
	v_rcp_iflag_f32_e32 v4, v4
	s_waitcnt lgkmcnt(0)
	s_add_u32 s20, s18, s26
	s_addc_u32 s21, s19, s27
	s_add_i32 s0, s0, s7
	v_mul_f32_e32 v4, 0x4f7ffffe, v4
	s_mul_i32 s0, s0, s1
	s_mul_i32 s1, s1, s24
	s_add_i32 s0, s0, s8
	s_lshl_b32 s1, s1, 9
	s_add_i32 s0, s0, s22
	v_cvt_u32_f32_e32 v4, v4
	s_add_i32 s0, s0, s23
	s_lshl_b32 s0, s0, 8
	s_add_i32 s1, s1, s0
	s_lshl_b32 s0, s6, 1
	v_or_b32_e32 v1, s1, v0
	s_add_i32 s0, s0, s15
	v_lshl_or_b32 v0, s15, 8, v0
	s_ashr_i32 s1, s0, 31
	v_ashrrev_i32_e32 v2, 31, v1
	s_lshl_b64 s[0:1], s[0:1], 3
	s_add_u32 s0, s18, s0
	s_addc_u32 s1, s19, s1
	v_lshlrev_b64 v[1:2], 2, v[1:2]
	s_load_dwordx2 s[0:1], s[0:1], 0x0
	s_add_i32 s8, s6, -1
	s_sub_i32 s2, 0, s9
	v_add_co_u32 v1, vcc_lo, s16, v1
	v_add_co_ci_u32_e64 v2, null, s17, v2, vcc_lo
	global_load_dword v3, v[1:2], off
	s_waitcnt lgkmcnt(0)
	v_mov_b32_e32 v5, s1
	v_mov_b32_e32 v6, s0
.LBB30_9:                               ; =>This Inner Loop Header: Depth=1
	s_mul_hi_i32 s5, s8, s3
	s_mul_i32 s6, s8, s3
	s_cmp_lg_u64 s[4:5], 0
	s_mov_b32 s7, -1
                                        ; implicit-def: $sgpr0_sgpr1
	s_cbranch_scc0 .LBB30_11
; %bb.10:                               ;   in Loop: Header=BB30_9 Depth=1
	s_add_u32 s0, s9, 0
	s_addc_u32 s1, 0, 0
	s_xor_b64 s[0:1], s[0:1], 0
	v_cvt_f32_u32_e32 v7, s0
	v_cvt_f32_u32_e32 v8, s1
	s_sub_u32 s17, 0, s0
	s_subb_u32 s22, 0, s1
	v_fmac_f32_e32 v7, 0x4f800000, v8
	v_rcp_f32_e32 v7, v7
	v_mul_f32_e32 v7, 0x5f7ffffc, v7
	v_mul_f32_e32 v8, 0x2f800000, v7
	v_trunc_f32_e32 v8, v8
	v_fmac_f32_e32 v7, 0xcf800000, v8
	v_cvt_u32_f32_e32 v8, v8
	v_cvt_u32_f32_e32 v7, v7
	v_readfirstlane_b32 s7, v8
	v_readfirstlane_b32 s16, v7
	s_mul_i32 s23, s17, s7
	s_mul_hi_u32 s25, s17, s16
	s_mul_i32 s24, s22, s16
	s_add_i32 s23, s25, s23
	s_mul_i32 s26, s17, s16
	s_add_i32 s23, s23, s24
	s_mul_hi_u32 s25, s16, s26
	s_mul_i32 s28, s16, s23
	s_mul_hi_u32 s27, s7, s26
	s_mul_i32 s24, s7, s26
	s_mul_hi_u32 s26, s16, s23
	s_add_u32 s25, s25, s28
	s_addc_u32 s26, 0, s26
	s_mul_hi_u32 s29, s7, s23
	s_add_u32 s24, s25, s24
	s_mul_i32 s23, s7, s23
	s_addc_u32 s24, s26, s27
	s_addc_u32 s25, s29, 0
	s_add_u32 s23, s24, s23
	s_addc_u32 s24, 0, s25
	s_add_u32 s16, s16, s23
	s_cselect_b32 s23, -1, 0
	s_mul_hi_u32 s25, s17, s16
	s_cmp_lg_u32 s23, 0
	s_mul_i32 s23, s17, s16
	s_addc_u32 s7, s7, s24
	s_mul_i32 s22, s22, s16
	s_mul_i32 s17, s17, s7
	s_mul_hi_u32 s24, s16, s23
	s_add_i32 s17, s25, s17
	s_mul_hi_u32 s25, s7, s23
	s_add_i32 s17, s17, s22
	s_mul_i32 s22, s7, s23
	s_mul_i32 s27, s16, s17
	s_mul_hi_u32 s26, s16, s17
	s_add_u32 s24, s24, s27
	s_addc_u32 s26, 0, s26
	s_mul_hi_u32 s23, s7, s17
	s_add_u32 s22, s24, s22
	s_mul_i32 s17, s7, s17
	s_addc_u32 s22, s26, s25
	s_addc_u32 s23, s23, 0
	s_add_u32 s17, s22, s17
	s_addc_u32 s22, 0, s23
	s_add_u32 s24, s16, s17
	s_cselect_b32 s16, -1, 0
	s_cmp_lg_u32 s16, 0
	s_addc_u32 s7, s7, s22
	s_ashr_i32 s16, s5, 31
	s_add_u32 s22, s6, s16
	s_mov_b32 s17, s16
	s_addc_u32 s23, s5, s16
	s_xor_b64 s[22:23], s[22:23], s[16:17]
	s_mul_i32 s25, s22, s7
	s_mul_hi_u32 s26, s22, s24
	s_mul_hi_u32 s5, s22, s7
	;; [unrolled: 1-line block ×3, first 2 shown]
	s_mul_i32 s24, s23, s24
	s_add_u32 s25, s26, s25
	s_addc_u32 s5, 0, s5
	s_mul_hi_u32 s27, s23, s7
	s_add_u32 s24, s25, s24
	s_mul_i32 s7, s23, s7
	s_addc_u32 s5, s5, s28
	s_addc_u32 s24, s27, 0
	s_add_u32 s5, s5, s7
	s_addc_u32 s7, 0, s24
	s_mul_hi_u32 s24, s0, s5
	s_mul_i32 s25, s0, s7
	s_mul_i32 s26, s1, s5
	s_add_i32 s24, s24, s25
	s_mul_i32 s25, s0, s5
	s_add_i32 s24, s24, s26
	s_sub_i32 s26, s23, s24
	s_sub_u32 s22, s22, s25
	s_cselect_b32 s25, -1, 0
	s_cmp_lg_u32 s25, 0
	s_subb_u32 s26, s26, s1
	s_sub_u32 s27, s22, s0
	s_cselect_b32 s28, -1, 0
	s_cmp_lg_u32 s28, 0
	s_subb_u32 s26, s26, 0
	s_cmp_ge_u32 s26, s1
	s_cselect_b32 s28, -1, 0
	s_cmp_ge_u32 s27, s0
	s_cselect_b32 s27, -1, 0
	s_cmp_eq_u32 s26, s1
	s_cselect_b32 s26, s27, s28
	s_add_u32 s27, s5, 1
	s_addc_u32 s28, s7, 0
	s_add_u32 s29, s5, 2
	s_addc_u32 s30, s7, 0
	s_cmp_lg_u32 s26, 0
	s_cselect_b32 s26, s29, s27
	s_cselect_b32 s27, s30, s28
	s_cmp_lg_u32 s25, 0
	s_subb_u32 s23, s23, s24
	s_cmp_ge_u32 s23, s1
	s_cselect_b32 s24, -1, 0
	s_cmp_ge_u32 s22, s0
	s_cselect_b32 s0, -1, 0
	s_cmp_eq_u32 s23, s1
	s_cselect_b32 s0, s0, s24
	s_cmp_lg_u32 s0, 0
	s_cselect_b32 s1, s27, s7
	s_cselect_b32 s0, s26, s5
	s_xor_b64 s[16:17], s[16:17], 0
	s_mov_b32 s7, 0
	s_xor_b64 s[0:1], s[0:1], s[16:17]
	s_sub_u32 s0, s0, s16
.LBB30_11:                              ;   in Loop: Header=BB30_9 Depth=1
	s_andn2_b32 vcc_lo, exec_lo, s7
	s_cbranch_vccnz .LBB30_13
; %bb.12:                               ;   in Loop: Header=BB30_9 Depth=1
	v_readfirstlane_b32 s0, v4
	s_mul_i32 s1, s2, s0
	s_mul_hi_u32 s1, s0, s1
	s_add_i32 s0, s0, s1
	s_mul_hi_u32 s0, s6, s0
	s_mul_i32 s1, s0, s9
	s_add_i32 s5, s0, 1
	s_sub_i32 s1, s6, s1
	s_sub_i32 s6, s1, s9
	s_cmp_ge_u32 s1, s9
	s_cselect_b32 s0, s5, s0
	s_cselect_b32 s1, s6, s1
	s_add_i32 s5, s0, 1
	s_cmp_ge_u32 s1, s9
	s_cselect_b32 s0, s5, s0
.LBB30_13:                              ;   in Loop: Header=BB30_9 Depth=1
	s_cmp_lg_u32 s10, s0
	s_mov_b32 s6, -1
                                        ; implicit-def: $sgpr5
                                        ; implicit-def: $vgpr8
                                        ; implicit-def: $vgpr7
                                        ; implicit-def: $vgpr9
                                        ; implicit-def: $sgpr1
                                        ; implicit-def: $sgpr16
	s_cbranch_scc0 .LBB30_18
; %bb.14:                               ;   in Loop: Header=BB30_9 Depth=1
	s_add_i32 s1, s8, s9
	s_mov_b32 s7, s4
	s_lshl_b32 s1, s1, 1
	s_mov_b32 s16, s10
	s_add_i32 s6, s1, s15
	s_mul_hi_u32 s1, s0, s12
	s_lshl_b64 s[6:7], s[6:7], 3
	s_add_u32 s6, s18, s6
	s_addc_u32 s7, s19, s7
	s_add_i32 s1, s1, s0
	s_lshr_b32 s1, s1, s13
	s_mul_i32 s5, s1, s14
	s_cmp_eq_u32 s5, s0
	s_cselect_b32 s5, -1, 0
	s_cmp_lt_u32 s1, s11
	s_cselect_b32 s1, -1, 0
	s_or_b32 s1, s1, s5
	s_mov_b32 s5, -1
	s_and_b32 vcc_lo, exec_lo, s1
	s_mov_b32 s1, s8
	s_cbranch_vccnz .LBB30_16
; %bb.15:                               ;   in Loop: Header=BB30_9 Depth=1
	s_add_i32 s1, s8, -1
	s_mov_b32 s5, 0
	s_mov_b32 s16, s0
.LBB30_16:                              ;   in Loop: Header=BB30_9 Depth=1
	v_lshl_add_u32 v7, s8, 9, v0
	s_load_dwordx2 s[6:7], s[6:7], 0x0
	v_ashrrev_i32_e32 v8, 31, v7
	v_lshlrev_b64 v[7:8], 2, v[7:8]
	v_add_co_u32 v7, vcc_lo, s20, v7
	v_add_co_ci_u32_e64 v8, null, s21, v8, vcc_lo
	s_waitcnt lgkmcnt(0)
	v_max_f32_e64 v9, s6, s6
	global_load_dword v8, v[7:8], off
	v_max_f32_e32 v7, v6, v6
	v_max_f32_e32 v7, v7, v9
	v_sub_f32_e32 v9, s6, v7
	v_sub_f32_e32 v10, v6, v7
	v_mul_f32_e32 v11, 0x3fb8aa3b, v9
	v_mul_f32_e32 v12, 0x3fb8aa3b, v10
	v_cmp_ngt_f32_e32 vcc_lo, 0xc2ce8ed0, v9
	v_fma_f32 v13, 0x3fb8aa3b, v9, -v11
	v_rndne_f32_e32 v14, v11
	v_fma_f32 v15, 0x3fb8aa3b, v10, -v12
	v_rndne_f32_e32 v16, v12
	v_fmac_f32_e32 v13, 0x32a5705f, v9
	v_sub_f32_e32 v11, v11, v14
	v_fmac_f32_e32 v15, 0x32a5705f, v10
	v_sub_f32_e32 v12, v12, v16
	v_add_f32_e32 v11, v11, v13
	v_cvt_i32_f32_e32 v13, v14
	v_add_f32_e32 v12, v12, v15
	v_cvt_i32_f32_e32 v14, v16
	v_exp_f32_e32 v11, v11
	v_exp_f32_e32 v12, v12
	v_ldexp_f32 v11, v11, v13
	v_ldexp_f32 v12, v12, v14
	v_cndmask_b32_e32 v11, 0, v11, vcc_lo
	v_cmp_ngt_f32_e32 vcc_lo, 0xc2ce8ed0, v10
	v_cndmask_b32_e32 v12, 0, v12, vcc_lo
	v_cmp_nlt_f32_e32 vcc_lo, 0x42b17218, v9
	v_cndmask_b32_e32 v11, 0x7f800000, v11, vcc_lo
	v_cmp_nlt_f32_e32 vcc_lo, 0x42b17218, v10
	v_cndmask_b32_e32 v12, 0x7f800000, v12, vcc_lo
	v_cmp_le_f32_e32 vcc_lo, 0xc1a00000, v9
	v_cndmask_b32_e32 v9, 0, v11, vcc_lo
	v_cmp_le_f32_e32 vcc_lo, 0xc1a00000, v10
	v_cndmask_b32_e32 v10, 0, v12, vcc_lo
	s_waitcnt vmcnt(0)
	v_mul_f32_e32 v8, v8, v9
	v_mul_f32_e32 v9, s7, v9
	v_fmac_f32_e32 v8, v3, v10
	v_fmac_f32_e32 v9, v5, v10
	s_cbranch_execz .LBB30_19
.LBB30_17:                              ;   in Loop: Header=BB30_9 Depth=1
	s_andn2_b32 vcc_lo, exec_lo, s5
	s_cbranch_vccnz .LBB30_20
	s_branch .LBB30_23
.LBB30_18:                              ;   in Loop: Header=BB30_9 Depth=1
	s_andn2_b32 vcc_lo, exec_lo, s6
	s_cbranch_vccnz .LBB30_17
.LBB30_19:                              ;   in Loop: Header=BB30_9 Depth=1
	v_mov_b32_e32 v9, v5
	v_mov_b32_e32 v7, v6
	s_waitcnt vmcnt(0)
	v_mov_b32_e32 v8, v3
	s_add_i32 s1, s8, -1
	s_mov_b32 s16, s10
	s_cbranch_execz .LBB30_23
.LBB30_20:                              ;   in Loop: Header=BB30_9 Depth=1
	v_mov_b32_e32 v5, v9
	v_mov_b32_e32 v6, v7
	s_waitcnt vmcnt(0)
	v_mov_b32_e32 v3, v8
	s_mov_b32 s10, s16
	s_mov_b32 s8, s1
	s_branch .LBB30_9
.LBB30_21:
                                        ; implicit-def: $sgpr10_sgpr11
	s_load_dwordx4 s[12:15], s[4:5], 0x44
	s_branch .LBB30_2
.LBB30_22:
                                        ; implicit-def: $sgpr18_sgpr19
	s_branch .LBB30_5
.LBB30_23:
	v_div_scale_f32 v0, null, v9, v9, v8
	s_waitcnt vmcnt(0)
	v_rcp_f32_e32 v3, v0
	v_fma_f32 v4, -v0, v3, 1.0
	v_fmac_f32_e32 v3, v4, v3
	v_div_scale_f32 v4, vcc_lo, v8, v9, v8
	v_mul_f32_e32 v5, v4, v3
	v_fma_f32 v6, -v0, v5, v4
	v_fmac_f32_e32 v5, v6, v3
	v_fma_f32 v0, -v0, v5, v4
	v_div_fmas_f32 v0, v0, v3, v5
	v_div_fixup_f32 v0, v0, v9, v8
	global_store_dword v[1:2], v0, off
.LBB30_24:
	s_endpgm
	.section	.rodata,"a",@progbits
	.p2align	6, 0x0
	.amdhsa_kernel _ZL33flash_attn_stream_k_fixup_generalILi256ELi2ELi1EEvPfPK15HIP_vector_typeIfLj2EEiiiiS1_IjLj3EES5_S5_S5_
		.amdhsa_group_segment_fixed_size 0
		.amdhsa_private_segment_fixed_size 0
		.amdhsa_kernarg_size 336
		.amdhsa_user_sgpr_count 6
		.amdhsa_user_sgpr_private_segment_buffer 1
		.amdhsa_user_sgpr_dispatch_ptr 0
		.amdhsa_user_sgpr_queue_ptr 0
		.amdhsa_user_sgpr_kernarg_segment_ptr 1
		.amdhsa_user_sgpr_dispatch_id 0
		.amdhsa_user_sgpr_flat_scratch_init 0
		.amdhsa_user_sgpr_private_segment_size 0
		.amdhsa_wavefront_size32 1
		.amdhsa_uses_dynamic_stack 0
		.amdhsa_system_sgpr_private_segment_wavefront_offset 0
		.amdhsa_system_sgpr_workgroup_id_x 1
		.amdhsa_system_sgpr_workgroup_id_y 1
		.amdhsa_system_sgpr_workgroup_id_z 1
		.amdhsa_system_sgpr_workgroup_info 0
		.amdhsa_system_vgpr_workitem_id 0
		.amdhsa_next_free_vgpr 17
		.amdhsa_next_free_sgpr 31
		.amdhsa_reserve_vcc 1
		.amdhsa_reserve_flat_scratch 0
		.amdhsa_float_round_mode_32 0
		.amdhsa_float_round_mode_16_64 0
		.amdhsa_float_denorm_mode_32 3
		.amdhsa_float_denorm_mode_16_64 3
		.amdhsa_dx10_clamp 1
		.amdhsa_ieee_mode 1
		.amdhsa_fp16_overflow 0
		.amdhsa_workgroup_processor_mode 1
		.amdhsa_memory_ordered 1
		.amdhsa_forward_progress 1
		.amdhsa_shared_vgpr_count 0
		.amdhsa_exception_fp_ieee_invalid_op 0
		.amdhsa_exception_fp_denorm_src 0
		.amdhsa_exception_fp_ieee_div_zero 0
		.amdhsa_exception_fp_ieee_overflow 0
		.amdhsa_exception_fp_ieee_underflow 0
		.amdhsa_exception_fp_ieee_inexact 0
		.amdhsa_exception_int_div_zero 0
	.end_amdhsa_kernel
	.section	.text._ZL33flash_attn_stream_k_fixup_generalILi256ELi2ELi1EEvPfPK15HIP_vector_typeIfLj2EEiiiiS1_IjLj3EES5_S5_S5_,"axG",@progbits,_ZL33flash_attn_stream_k_fixup_generalILi256ELi2ELi1EEvPfPK15HIP_vector_typeIfLj2EEiiiiS1_IjLj3EES5_S5_S5_,comdat
.Lfunc_end30:
	.size	_ZL33flash_attn_stream_k_fixup_generalILi256ELi2ELi1EEvPfPK15HIP_vector_typeIfLj2EEiiiiS1_IjLj3EES5_S5_S5_, .Lfunc_end30-_ZL33flash_attn_stream_k_fixup_generalILi256ELi2ELi1EEvPfPK15HIP_vector_typeIfLj2EEiiiiS1_IjLj3EES5_S5_S5_
                                        ; -- End function
	.set _ZL33flash_attn_stream_k_fixup_generalILi256ELi2ELi1EEvPfPK15HIP_vector_typeIfLj2EEiiiiS1_IjLj3EES5_S5_S5_.num_vgpr, 17
	.set _ZL33flash_attn_stream_k_fixup_generalILi256ELi2ELi1EEvPfPK15HIP_vector_typeIfLj2EEiiiiS1_IjLj3EES5_S5_S5_.num_agpr, 0
	.set _ZL33flash_attn_stream_k_fixup_generalILi256ELi2ELi1EEvPfPK15HIP_vector_typeIfLj2EEiiiiS1_IjLj3EES5_S5_S5_.numbered_sgpr, 31
	.set _ZL33flash_attn_stream_k_fixup_generalILi256ELi2ELi1EEvPfPK15HIP_vector_typeIfLj2EEiiiiS1_IjLj3EES5_S5_S5_.num_named_barrier, 0
	.set _ZL33flash_attn_stream_k_fixup_generalILi256ELi2ELi1EEvPfPK15HIP_vector_typeIfLj2EEiiiiS1_IjLj3EES5_S5_S5_.private_seg_size, 0
	.set _ZL33flash_attn_stream_k_fixup_generalILi256ELi2ELi1EEvPfPK15HIP_vector_typeIfLj2EEiiiiS1_IjLj3EES5_S5_S5_.uses_vcc, 1
	.set _ZL33flash_attn_stream_k_fixup_generalILi256ELi2ELi1EEvPfPK15HIP_vector_typeIfLj2EEiiiiS1_IjLj3EES5_S5_S5_.uses_flat_scratch, 0
	.set _ZL33flash_attn_stream_k_fixup_generalILi256ELi2ELi1EEvPfPK15HIP_vector_typeIfLj2EEiiiiS1_IjLj3EES5_S5_S5_.has_dyn_sized_stack, 0
	.set _ZL33flash_attn_stream_k_fixup_generalILi256ELi2ELi1EEvPfPK15HIP_vector_typeIfLj2EEiiiiS1_IjLj3EES5_S5_S5_.has_recursion, 0
	.set _ZL33flash_attn_stream_k_fixup_generalILi256ELi2ELi1EEvPfPK15HIP_vector_typeIfLj2EEiiiiS1_IjLj3EES5_S5_S5_.has_indirect_call, 0
	.section	.AMDGPU.csdata,"",@progbits
; Kernel info:
; codeLenInByte = 2936
; TotalNumSgprs: 33
; NumVgprs: 17
; ScratchSize: 0
; MemoryBound: 0
; FloatMode: 240
; IeeeMode: 1
; LDSByteSize: 0 bytes/workgroup (compile time only)
; SGPRBlocks: 0
; VGPRBlocks: 2
; NumSGPRsForWavesPerEU: 33
; NumVGPRsForWavesPerEU: 17
; Occupancy: 16
; WaveLimiterHint : 0
; COMPUTE_PGM_RSRC2:SCRATCH_EN: 0
; COMPUTE_PGM_RSRC2:USER_SGPR: 6
; COMPUTE_PGM_RSRC2:TRAP_HANDLER: 0
; COMPUTE_PGM_RSRC2:TGID_X_EN: 1
; COMPUTE_PGM_RSRC2:TGID_Y_EN: 1
; COMPUTE_PGM_RSRC2:TGID_Z_EN: 1
; COMPUTE_PGM_RSRC2:TIDIG_COMP_CNT: 0
	.section	.text._ZL18flash_attn_ext_vecILi256ELi2EL9ggml_type2ELS0_2ELb1EEvPKcS2_S2_S2_S2_PKiPfP15HIP_vector_typeIfLj2EEffffjfiS6_IjLj3EEiiiiiiiiiiiliiliiiiil,"axG",@progbits,_ZL18flash_attn_ext_vecILi256ELi2EL9ggml_type2ELS0_2ELb1EEvPKcS2_S2_S2_S2_PKiPfP15HIP_vector_typeIfLj2EEffffjfiS6_IjLj3EEiiiiiiiiiiiliiliiiiil,comdat
	.globl	_ZL18flash_attn_ext_vecILi256ELi2EL9ggml_type2ELS0_2ELb1EEvPKcS2_S2_S2_S2_PKiPfP15HIP_vector_typeIfLj2EEffffjfiS6_IjLj3EEiiiiiiiiiiiliiliiiiil ; -- Begin function _ZL18flash_attn_ext_vecILi256ELi2EL9ggml_type2ELS0_2ELb1EEvPKcS2_S2_S2_S2_PKiPfP15HIP_vector_typeIfLj2EEffffjfiS6_IjLj3EEiiiiiiiiiiiliiliiiiil
	.p2align	8
	.type	_ZL18flash_attn_ext_vecILi256ELi2EL9ggml_type2ELS0_2ELb1EEvPKcS2_S2_S2_S2_PKiPfP15HIP_vector_typeIfLj2EEffffjfiS6_IjLj3EEiiiiiiiiiiiliiliiiiil,@function
_ZL18flash_attn_ext_vecILi256ELi2EL9ggml_type2ELS0_2ELb1EEvPKcS2_S2_S2_S2_PKiPfP15HIP_vector_typeIfLj2EEffffjfiS6_IjLj3EEiiiiiiiiiiiliiliiiiil: ; @_ZL18flash_attn_ext_vecILi256ELi2EL9ggml_type2ELS0_2ELb1EEvPKcS2_S2_S2_S2_PKiPfP15HIP_vector_typeIfLj2EEffffjfiS6_IjLj3EEiiiiiiiiiiiliiliiiiil
; %bb.0:
	s_clause 0x2
	s_load_dwordx2 s[70:71], s[6:7], 0x64
	s_load_dwordx2 s[16:17], s[6:7], 0x80
	;; [unrolled: 1-line block ×3, first 2 shown]
	v_mov_b32_e32 v39, v0
	s_mov_b64 s[98:99], s[2:3]
	s_mov_b64 s[96:97], s[0:1]
	s_mov_b32 s68, s9
	s_add_u32 s96, s96, s11
	s_addc_u32 s97, s97, 0
	v_mov_b32_e32 v36, v1
	s_clause 0x1
	s_load_dwordx4 s[12:15], s[6:7], 0x40
	s_load_dwordx2 s[74:75], s[6:7], 0x50
	s_waitcnt lgkmcnt(0)
	v_cvt_f32_u32_e32 v0, s71
	s_sub_i32 s1, 0, s71
	v_rcp_iflag_f32_e32 v0, v0
	v_mul_f32_e32 v0, 0x4f7ffffe, v0
	v_cvt_u32_f32_e32 v0, v0
	v_readfirstlane_b32 s0, v0
	s_mul_i32 s1, s1, s0
	s_mul_hi_u32 s1, s0, s1
	s_add_i32 s0, s0, s1
	s_mul_hi_u32 s0, s10, s0
	s_mul_i32 s1, s0, s71
	s_add_i32 s2, s0, 1
	s_sub_i32 s1, s10, s1
	s_sub_i32 s3, s1, s71
	s_cmp_ge_u32 s1, s71
	s_cselect_b32 s0, s2, s0
	s_cselect_b32 s1, s3, s1
	s_add_i32 s2, s0, 1
	s_cmp_ge_u32 s1, s71
	s_cselect_b32 s69, s2, s0
	s_abs_i32 s0, s17
	s_abs_i32 s9, s71
	v_cvt_f32_u32_e32 v0, s0
	s_sub_i32 s2, 0, s0
	s_xor_b32 s3, s71, s17
	s_ashr_i32 s3, s3, 31
	v_rcp_iflag_f32_e32 v0, v0
	v_mul_f32_e32 v0, 0x4f7ffffe, v0
	v_cvt_u32_f32_e32 v0, v0
	v_readfirstlane_b32 s1, v0
	s_mul_i32 s2, s2, s1
	s_mul_hi_u32 s2, s1, s2
	s_add_i32 s1, s1, s2
	s_mul_i32 s2, s69, s71
	s_mul_hi_u32 s1, s9, s1
	s_sub_i32 s72, s10, s2
	s_mul_i32 s11, s1, s0
	s_sub_i32 s2, s9, s11
	s_add_i32 s9, s1, 1
	s_sub_i32 s10, s2, s0
	s_cmp_ge_u32 s2, s0
	s_cselect_b32 s1, s9, s1
	s_cselect_b32 s2, s10, s2
	s_add_i32 s9, s1, 1
	s_cmp_ge_u32 s2, s0
	s_cselect_b32 s0, s9, s1
	s_abs_i32 s9, s18
	s_xor_b32 s0, s0, s3
	v_cvt_f32_u32_e32 v0, s9
	s_sub_i32 s11, s0, s3
	v_cmp_le_f32_e64 s0, s13, 0
	s_abs_i32 s10, s11
	v_cvt_f32_u32_e32 v1, s10
	v_rcp_iflag_f32_e32 v0, v0
	s_and_b32 vcc_lo, exec_lo, s0
	v_rcp_iflag_f32_e32 v1, v1
	v_mul_f32_e32 v0, 0x4f7ffffe, v0
	v_mul_f32_e32 v1, 0x4f7ffffe, v1
	v_cvt_u32_f32_e32 v0, v0
	v_cvt_u32_f32_e32 v1, v1
	v_readfirstlane_b32 s13, v0
	v_mov_b32_e32 v0, 1.0
	v_readfirstlane_b32 s17, v1
	buffer_store_dword v0, off, s[96:99], 0 offset:244 ; 4-byte Folded Spill
	s_cbranch_vccnz .LBB31_2
; %bb.1:
	v_sub_co_u32 v1, vcc_lo, s72, s74
	v_mov_b32_e32 v0, s14
	s_add_i32 s0, s72, 1
	v_lshlrev_b32_e32 v1, 1, v1
	v_cndmask_b32_e32 v0, s15, v0, vcc_lo
	v_or_b32_e32 v1, 1, v1
	v_cndmask_b32_e64 v1, v1, s0, vcc_lo
	v_cmp_neq_f32_e32 vcc_lo, 1.0, v0
	s_mov_b32 s0, 0x3e76c4e1
	v_cvt_f32_i32_e32 v1, v1
	v_cndmask_b32_e32 v3, 1.0, v1, vcc_lo
	v_cmp_neq_f32_e32 vcc_lo, 0, v3
	v_cndmask_b32_e32 v4, 1.0, v0, vcc_lo
	v_frexp_mant_f32_e64 v0, |v4|
	v_cmp_eq_f32_e64 s2, 0, v4
	v_cmp_gt_f32_e32 vcc_lo, 0x3f2aaaab, v0
	v_cndmask_b32_e64 v1, 1.0, 2.0, vcc_lo
	v_mul_f32_e32 v0, v0, v1
	v_add_f32_e32 v1, 1.0, v0
	v_add_f32_e32 v6, -1.0, v0
	v_rcp_f32_e32 v5, v1
	v_add_f32_e32 v8, -1.0, v1
	v_sub_f32_e32 v0, v0, v8
	v_mul_f32_e32 v7, v6, v5
	v_mul_f32_e32 v9, v1, v7
	v_fma_f32 v1, v7, v1, -v9
	v_fmac_f32_e32 v1, v7, v0
	v_add_f32_e32 v0, v9, v1
	v_sub_f32_e32 v8, v6, v0
	v_sub_f32_e32 v9, v0, v9
	;; [unrolled: 1-line block ×5, first 2 shown]
	v_add_f32_e32 v0, v1, v0
	v_add_f32_e32 v0, v8, v0
	v_mul_f32_e32 v0, v5, v0
	v_add_f32_e32 v5, v7, v0
	v_sub_f32_e32 v1, v5, v7
	v_mul_f32_e32 v6, v5, v5
	v_sub_f32_e32 v7, v0, v1
	v_fma_f32 v0, v5, v5, -v6
	v_add_f32_e32 v1, v7, v7
	v_fmac_f32_e32 v0, v5, v1
	v_add_f32_e32 v8, v6, v0
	v_fmaak_f32 v1, s0, v8, 0x3e91f4c4
	v_sub_f32_e32 v6, v8, v6
	v_mul_f32_e32 v13, v5, v8
	v_fmaak_f32 v1, v8, v1, 0x3ecccdef
	v_sub_f32_e32 v6, v0, v6
	v_fma_f32 v14, v8, v5, -v13
	v_mul_f32_e32 v9, v8, v1
	v_fmac_f32_e32 v14, v8, v7
	v_ldexp_f32 v7, v7, 1
	v_fma_f32 v10, v8, v1, -v9
	v_fmac_f32_e32 v14, v6, v5
	v_fmac_f32_e32 v10, v6, v1
	v_cvt_f64_f32_e64 v[0:1], |v4|
	v_add_f32_e32 v11, v9, v10
	v_sub_f32_e32 v9, v11, v9
	v_add_f32_e32 v12, 0x3f2aaaaa, v11
	v_sub_f32_e32 v9, v10, v9
	v_add_f32_e32 v10, 0xbf2aaaaa, v12
	v_add_f32_e32 v9, 0x31739010, v9
	v_sub_f32_e32 v10, v11, v10
	v_frexp_exp_i32_f64_e32 v0, v[0:1]
	v_add_f32_e32 v8, v9, v10
	v_add_f32_e32 v9, v13, v14
	;; [unrolled: 1-line block ×3, first 2 shown]
	v_sub_f32_e32 v11, v9, v13
	v_sub_f32_e32 v1, v12, v6
	v_mul_f32_e32 v10, v9, v6
	v_sub_f32_e32 v11, v14, v11
	v_add_f32_e32 v1, v8, v1
	v_fma_f32 v8, v9, v6, -v10
	v_subrev_co_ci_u32_e64 v0, null, 0, v0, vcc_lo
	v_fmac_f32_e32 v8, v9, v1
	v_ldexp_f32 v1, v5, 1
	v_cvt_f32_i32_e32 v0, v0
	v_fmac_f32_e32 v8, v11, v6
	v_add_f32_e32 v5, v10, v8
	v_add_f32_e32 v6, v1, v5
	v_sub_f32_e32 v9, v5, v10
	v_mul_f32_e32 v10, 0x3f317218, v0
	v_sub_f32_e32 v1, v6, v1
	v_sub_f32_e32 v8, v8, v9
	v_fma_f32 v9, 0x3f317218, v0, -v10
	v_sub_f32_e32 v1, v5, v1
	v_add_f32_e32 v5, v7, v8
	v_fmamk_f32 v0, v0, 0xb102e308, v9
	v_add_f32_e32 v1, v5, v1
	v_add_f32_e32 v5, v10, v0
	;; [unrolled: 1-line block ×3, first 2 shown]
	v_sub_f32_e32 v10, v5, v10
	v_add_f32_e32 v8, v5, v7
	v_sub_f32_e32 v6, v7, v6
	v_sub_f32_e32 v0, v0, v10
	;; [unrolled: 1-line block ×6, first 2 shown]
	v_add_f32_e32 v7, v0, v1
	v_sub_f32_e32 v5, v5, v11
	v_add_f32_e32 v5, v6, v5
	v_sub_f32_e32 v6, v7, v0
	v_add_f32_e32 v5, v7, v5
	v_sub_f32_e32 v7, v7, v6
	v_sub_f32_e32 v1, v1, v6
	v_add_f32_e32 v9, v8, v5
	v_sub_f32_e32 v0, v0, v7
	v_sub_f32_e32 v6, v9, v8
	v_add_f32_e32 v0, v1, v0
	v_sub_f32_e32 v1, v5, v6
	v_add_f32_e32 v0, v0, v1
	v_add_f32_e32 v1, v9, v0
	v_sub_f32_e32 v5, v1, v9
	v_mul_f32_e32 v6, v3, v1
	v_sub_f32_e32 v0, v0, v5
	v_fma_f32 v1, v3, v1, -v6
	v_cmp_class_f32_e64 vcc_lo, v6, 0x204
	v_fmac_f32_e32 v1, v3, v0
	v_add_f32_e32 v0, v6, v1
	v_cndmask_b32_e32 v5, v0, v6, vcc_lo
	v_sub_f32_e32 v0, v0, v6
	v_cmp_eq_f32_e32 vcc_lo, 0x42b17218, v5
	v_sub_f32_e32 v0, v1, v0
	v_cndmask_b32_e64 v7, 0, 0x37000000, vcc_lo
	v_cmp_neq_f32_e64 vcc_lo, 0x7f800000, |v5|
	v_sub_f32_e32 v8, v5, v7
	v_cndmask_b32_e32 v0, 0, v0, vcc_lo
	v_trunc_f32_e32 v5, v3
	v_mul_f32_e32 v9, 0x3fb8aa3b, v8
	v_cmp_ngt_f32_e32 vcc_lo, 0xc2ce8ed0, v8
	v_add_f32_e32 v0, v7, v0
	v_fma_f32 v10, 0x3fb8aa3b, v8, -v9
	v_rndne_f32_e32 v11, v9
	v_fmamk_f32 v10, v8, 0x32a5705f, v10
	v_sub_f32_e32 v9, v9, v11
	v_cvt_i32_f32_e32 v6, v11
	v_add_f32_e32 v9, v9, v10
	v_exp_f32_e32 v9, v9
	v_ldexp_f32 v1, v9, v6
	v_mul_f32_e32 v6, 0.5, v3
	v_cndmask_b32_e32 v1, 0, v1, vcc_lo
	v_cmp_nlt_f32_e32 vcc_lo, 0x42b17218, v8
	v_trunc_f32_e32 v9, v6
	v_cndmask_b32_e32 v1, 0x7f800000, v1, vcc_lo
	v_cmp_eq_f32_e32 vcc_lo, v5, v3
	v_cmp_neq_f32_e64 s0, v9, v6
	v_fma_f32 v0, v1, v0, v1
	v_cmp_class_f32_e64 s1, v1, 0x204
	s_and_b32 s0, vcc_lo, s0
	v_cndmask_b32_e64 v5, 1.0, v4, s0
	v_cndmask_b32_e64 v0, v0, v1, s1
	v_cmp_gt_f32_e64 s1, 0, v3
	v_bfi_b32 v0, 0x7fffffff, v0, v5
	s_xor_b32 s1, s1, s2
	v_cndmask_b32_e64 v5, 0, v4, s0
	v_cndmask_b32_e64 v1, 0x7f800000, 0, s1
	v_cmp_class_f32_e64 s0, v4, 0x204
	v_cndmask_b32_e32 v3, 0x7fc00000, v0, vcc_lo
	v_cmp_gt_f32_e32 vcc_lo, 0, v4
	v_bfi_b32 v1, 0x7fffffff, v1, v5
	v_cndmask_b32_e32 v0, v0, v3, vcc_lo
	s_or_b32 vcc_lo, s2, s0
	v_cndmask_b32_e32 v0, v0, v1, vcc_lo
	v_cmp_o_f32_e32 vcc_lo, v4, v4
	v_cndmask_b32_e32 v0, 0x7fc00000, v0, vcc_lo
	buffer_store_dword v0, off, s[96:99], 0 offset:244 ; 4-byte Folded Spill
.LBB31_2:
	s_load_dwordx2 s[0:1], s[4:5], 0x4
	s_load_dwordx16 s[48:63], s[6:7], 0x0
	v_mov_b32_e32 v1, 0
	v_lshlrev_b32_e32 v37, 9, v36
	v_lshlrev_b32_e32 v38, 2, v39
	s_lshl_b32 s74, s8, 1
	s_mov_b32 s5, exec_lo
	s_waitcnt lgkmcnt(0)
	v_mul_u32_u24_e32 v0, s1, v36
	s_lshr_b32 s0, s0, 16
	s_mul_i32 s0, s0, s1
	v_mad_u32_u24 v0, s0, v39, v0
	v_cmp_lt_u32_e64 s0, 1, v36
	v_add_lshl_u32 v34, v0, v2, 5
	v_add_nc_u32_e32 v0, 0xa04, v34
	v_add_nc_u32_e32 v2, 0xa0c, v34
	;; [unrolled: 1-line block ×4, first 2 shown]
	ds_write2_b32 v0, v1, v1 offset1:1
	ds_write2_b32 v2, v1, v1 offset1:1
	;; [unrolled: 1-line block ×3, first 2 shown]
	ds_write2_b32 v4, v1, v1 offset0:128 offset1:135
	v_cmpx_gt_u32_e32 2, v36
	s_cbranch_execz .LBB31_17
; %bb.3:
	v_lshl_add_u32 v4, v39, 3, v37
	v_sub_nc_u32_e32 v3, 0, v38
	v_or_b32_e32 v2, s74, v36
	v_or_b32_e32 v0, v37, v39
	s_mov_b32 s1, exec_lo
	v_add_nc_u32_e32 v6, v4, v3
	v_cmpx_le_i32_e64 s70, v2
	s_xor_b32 s1, exec_lo, s1
	s_cbranch_execz .LBB31_7
; %bb.4:
	v_mov_b32_e32 v2, 0
	v_mad_u32_u24 v0, v39, 3, v0
	s_mov_b32 s2, exec_lo
	ds_write_b32 v6, v2
	ds_write_b32 v0, v2 offset:128
	v_cmpx_gt_u32_e32 8, v39
; %bb.5:
	v_mov_b32_e32 v3, v2
	ds_write_b64 v4, v[2:3] offset:256
; %bb.6:
	s_or_b32 exec_lo, exec_lo, s2
                                        ; implicit-def: $vgpr6
                                        ; implicit-def: $vgpr0
.LBB31_7:
	s_andn2_saveexec_b32 s1, s1
	s_cbranch_execz .LBB31_17
; %bb.8:
	s_load_dwordx4 s[20:23], s[6:7], 0x70
	v_lshlrev_b32_e32 v3, 2, v38
	s_mov_b32 s4, exec_lo
	s_waitcnt lgkmcnt(0)
	v_mul_lo_u32 v2, s20, v36
	s_mul_i32 s1, s69, s22
	s_mul_i32 s2, s20, s74
	;; [unrolled: 1-line block ×3, first 2 shown]
	s_add_i32 s1, s1, s2
	s_add_i32 s1, s1, s3
	s_ashr_i32 s2, s1, 31
	v_ashrrev_i32_e32 v4, 31, v2
	s_add_u32 s1, s48, s1
	s_addc_u32 s2, s49, s2
	v_add_co_u32 v2, vcc_lo, s1, v2
	v_add_co_ci_u32_e64 v4, null, s2, v4, vcc_lo
	v_add_co_u32 v2, vcc_lo, v2, v3
	v_add_co_ci_u32_e64 v3, null, 0, v4, vcc_lo
	v_mbcnt_lo_u32_b32 v4, -1, 0
	global_load_dwordx4 v[15:18], v[2:3], off
	v_xor_b32_e32 v5, 4, v4
	v_xor_b32_e32 v9, 2, v4
	v_xor_b32_e32 v11, 1, v4
	v_cmp_gt_i32_e32 vcc_lo, 32, v5
	v_cndmask_b32_e32 v5, v4, v5, vcc_lo
	v_cmp_gt_i32_e32 vcc_lo, 32, v9
	v_lshlrev_b32_e32 v7, 2, v5
	v_cndmask_b32_e32 v9, v4, v9, vcc_lo
	v_cmp_gt_i32_e32 vcc_lo, 32, v11
	v_lshlrev_b32_e32 v9, 2, v9
	v_cndmask_b32_e32 v4, v4, v11, vcc_lo
	s_waitcnt vmcnt(0)
	v_mul_f32_e32 v10, s12, v15
	v_mul_f32_e32 v12, s12, v16
	;; [unrolled: 1-line block ×4, first 2 shown]
	v_max_f32_e64 v8, |v10|, |v12|
	v_max3_f32 v5, v8, |v14|, |v13|
	ds_bpermute_b32 v8, v7, v5
	s_waitcnt lgkmcnt(0)
	v_max_f32_e32 v8, v8, v8
	v_max_f32_e32 v5, v5, v8
	ds_bpermute_b32 v8, v9, v5
	s_waitcnt lgkmcnt(0)
	v_max_f32_e32 v11, v8, v8
	v_lshlrev_b32_e32 v8, 2, v4
	v_max_f32_e32 v4, v5, v11
	v_fma_f32 v11, s12, v15, v12
	ds_bpermute_b32 v5, v8, v4
	v_fmac_f32_e32 v11, s12, v17
	v_fmac_f32_e32 v11, s12, v18
	ds_bpermute_b32 v15, v7, v11
	s_waitcnt lgkmcnt(1)
	v_max_f32_e32 v5, v5, v5
	v_max_f32_e32 v4, v4, v5
	v_div_scale_f32 v16, null, 0x42fe0000, 0x42fe0000, v4
	s_waitcnt lgkmcnt(0)
	v_add_f32_e32 v5, v11, v15
	v_div_scale_f32 v18, vcc_lo, v4, 0x42fe0000, v4
	v_rcp_f32_e32 v17, v16
	ds_bpermute_b32 v15, v9, v5
	v_fma_f32 v11, -v16, v17, 1.0
	v_fmac_f32_e32 v17, v11, v17
	v_mul_f32_e32 v19, v18, v17
	s_waitcnt lgkmcnt(0)
	v_add_f32_e32 v5, v5, v15
	v_fma_f32 v11, -v16, v19, v18
	v_fmac_f32_e32 v19, v11, v17
	ds_bpermute_b32 v11, v8, v5
	v_fma_f32 v15, -v16, v19, v18
	v_div_fmas_f32 v15, v15, v17, v19
	v_div_fixup_f32 v4, v15, 0x42fe0000, v4
	v_mov_b32_e32 v15, 0
	v_cmpx_neq_f32_e32 0, v4
	s_cbranch_execz .LBB31_10
; %bb.9:
	v_div_scale_f32 v15, null, v4, v4, v10
	v_div_scale_f32 v16, null, v4, v4, v12
	;; [unrolled: 1-line block ×3, first 2 shown]
	v_rcp_f32_e32 v17, v15
	v_div_scale_f32 v19, null, v4, v4, v13
	v_rcp_f32_e32 v20, v16
	v_rcp_f32_e32 v21, v18
	v_div_scale_f32 v25, vcc_lo, v10, v4, v10
	v_rcp_f32_e32 v22, v19
	v_fma_f32 v23, -v15, v17, 1.0
	v_fma_f32 v24, -v16, v20, 1.0
	;; [unrolled: 1-line block ×3, first 2 shown]
	v_fmac_f32_e32 v17, v23, v17
	v_div_scale_f32 v23, s1, v12, v4, v12
	v_fma_f32 v27, -v19, v22, 1.0
	v_fmac_f32_e32 v20, v24, v20
	v_fmac_f32_e32 v21, v26, v21
	v_div_scale_f32 v24, s2, v14, v4, v14
	v_fmac_f32_e32 v22, v27, v22
	v_mul_f32_e32 v27, v25, v17
	v_mul_f32_e32 v28, v23, v20
	;; [unrolled: 1-line block ×3, first 2 shown]
	v_div_scale_f32 v26, s3, v13, v4, v13
	v_fma_f32 v31, -v15, v27, v25
	v_fma_f32 v32, -v16, v28, v23
	;; [unrolled: 1-line block ×3, first 2 shown]
	v_mul_f32_e32 v30, v26, v22
	v_fmac_f32_e32 v27, v31, v17
	v_fmac_f32_e32 v28, v32, v20
	;; [unrolled: 1-line block ×3, first 2 shown]
	v_fma_f32 v35, -v19, v30, v26
	v_fma_f32 v15, -v15, v27, v25
	;; [unrolled: 1-line block ×4, first 2 shown]
	v_fmac_f32_e32 v30, v35, v22
	v_div_fmas_f32 v15, v15, v17, v27
	s_mov_b32 vcc_lo, s1
	v_div_fmas_f32 v16, v16, v20, v28
	s_mov_b32 vcc_lo, s2
	v_div_fixup_f32 v10, v15, v4, v10
	v_div_fmas_f32 v17, v18, v21, v29
	v_fma_f32 v18, -v19, v30, v26
	s_mov_b32 vcc_lo, s3
	v_div_fixup_f32 v12, v16, v4, v12
	v_div_fixup_f32 v14, v17, v4, v14
	v_div_fmas_f32 v17, v18, v22, v30
	v_trunc_f32_e32 v16, v12
	v_trunc_f32_e32 v18, v14
	v_div_fixup_f32 v13, v17, v4, v13
	v_trunc_f32_e32 v17, v10
	v_sub_f32_e32 v20, v12, v16
	v_sub_f32_e32 v15, v14, v18
	v_trunc_f32_e32 v19, v13
	v_sub_f32_e32 v22, v10, v17
	v_cmp_ge_f32_e64 s1, |v15|, 0.5
	v_sub_f32_e32 v21, v13, v19
	v_cndmask_b32_e64 v15, 0, 1.0, s1
	v_cmp_ge_f32_e64 s1, |v20|, 0.5
	v_bfi_b32 v14, 0x7fffffff, v15, v14
	v_cndmask_b32_e64 v15, 0, 1.0, s1
	v_cmp_ge_f32_e64 s1, |v21|, 0.5
	v_add_f32_e32 v14, v18, v14
	v_bfi_b32 v12, 0x7fffffff, v15, v12
	v_cndmask_b32_e64 v20, 0, 1.0, s1
	v_cmp_ge_f32_e64 s1, |v22|, 0.5
	v_mov_b32_e32 v15, 8
	v_cvt_i32_f32_e32 v14, v14
	v_add_f32_e32 v12, v16, v12
	v_bfi_b32 v13, 0x7fffffff, v20, v13
	v_cndmask_b32_e64 v18, 0, 1.0, s1
	v_and_b32_e32 v14, 0xff, v14
	v_cvt_i32_f32_e32 v12, v12
	v_add_f32_e32 v13, v19, v13
	v_bfi_b32 v10, 0x7fffffff, v18, v10
	v_lshlrev_b32_e32 v14, 16, v14
	v_lshlrev_b32_sdwa v12, v15, v12 dst_sel:DWORD dst_unused:UNUSED_PAD src0_sel:DWORD src1_sel:BYTE_0
	v_cvt_i32_f32_e32 v13, v13
	v_add_f32_e32 v10, v17, v10
	v_lshl_or_b32 v13, v13, 24, v14
	v_cvt_i32_f32_e32 v10, v10
	v_and_b32_e32 v10, 0xff, v10
	v_or3_b32 v15, v13, v12, v10
.LBB31_10:
	s_or_b32 exec_lo, exec_lo, s4
	v_and_b32_e32 v10, 7, v39
	ds_write_b32 v6, v15
	v_cmp_eq_u32_e64 s1, 0, v10
	s_and_saveexec_b32 s2, s1
	s_cbranch_execz .LBB31_12
; %bb.11:
	s_waitcnt lgkmcnt(1)
	v_add_f32_e32 v5, v5, v11
	ds_write_b64 v0, v[4:5] offset:256
.LBB31_12:
	s_or_b32 exec_lo, exec_lo, s2
	global_load_dwordx4 v[13:16], v[2:3], off offset:512
	s_waitcnt vmcnt(0)
	v_mul_f32_e32 v5, s12, v13
	v_mul_f32_e32 v10, s12, v14
	;; [unrolled: 1-line block ×3, first 2 shown]
	s_waitcnt lgkmcnt(1)
	v_mul_f32_e32 v11, s12, v16
	v_max_f32_e64 v2, |v5|, |v10|
	v_fma_f32 v4, s12, v13, v10
	v_max3_f32 v2, v2, |v12|, |v11|
	v_fmac_f32_e32 v4, s12, v15
	ds_bpermute_b32 v3, v7, v2
	v_fmac_f32_e32 v4, s12, v16
	s_mov_b32 s12, exec_lo
	ds_bpermute_b32 v7, v7, v4
	s_waitcnt lgkmcnt(1)
	v_max_f32_e32 v3, v3, v3
	v_max_f32_e32 v2, v2, v3
	ds_bpermute_b32 v3, v9, v2
	s_waitcnt lgkmcnt(0)
	v_max_f32_e32 v3, v3, v3
	v_max_f32_e32 v2, v2, v3
	;; [unrolled: 4-line block ×3, first 2 shown]
	v_add_f32_e32 v3, v4, v7
	v_div_scale_f32 v13, null, 0x42fe0000, 0x42fe0000, v2
	ds_bpermute_b32 v7, v9, v3
	v_div_scale_f32 v9, vcc_lo, v2, 0x42fe0000, v2
	v_rcp_f32_e32 v14, v13
	v_fma_f32 v4, -v13, v14, 1.0
	v_fmac_f32_e32 v14, v4, v14
	s_waitcnt lgkmcnt(0)
	v_add_f32_e32 v3, v3, v7
	v_mul_f32_e32 v15, v9, v14
	v_fma_f32 v4, -v13, v15, v9
	v_fmac_f32_e32 v15, v4, v14
	ds_bpermute_b32 v4, v8, v3
	v_fma_f32 v7, -v13, v15, v9
	v_div_fmas_f32 v7, v7, v14, v15
	v_div_fixup_f32 v2, v7, 0x42fe0000, v2
	v_mov_b32_e32 v7, 0
	v_cmpx_neq_f32_e32 0, v2
	s_cbranch_execz .LBB31_14
; %bb.13:
	v_div_scale_f32 v7, null, v2, v2, v5
	v_div_scale_f32 v8, null, v2, v2, v10
	;; [unrolled: 1-line block ×3, first 2 shown]
	v_rcp_f32_e32 v9, v7
	v_div_scale_f32 v14, null, v2, v2, v11
	v_rcp_f32_e32 v15, v8
	v_rcp_f32_e32 v16, v13
	v_div_scale_f32 v20, vcc_lo, v5, v2, v5
	v_rcp_f32_e32 v17, v14
	v_fma_f32 v18, -v7, v9, 1.0
	v_fma_f32 v19, -v8, v15, 1.0
	;; [unrolled: 1-line block ×3, first 2 shown]
	v_fmac_f32_e32 v9, v18, v9
	v_div_scale_f32 v18, s2, v10, v2, v10
	v_fma_f32 v22, -v14, v17, 1.0
	v_fmac_f32_e32 v15, v19, v15
	v_fmac_f32_e32 v16, v21, v16
	v_div_scale_f32 v19, s3, v12, v2, v12
	v_fmac_f32_e32 v17, v22, v17
	v_mul_f32_e32 v22, v20, v9
	v_mul_f32_e32 v23, v18, v15
	;; [unrolled: 1-line block ×3, first 2 shown]
	v_div_scale_f32 v21, s4, v11, v2, v11
	v_fma_f32 v26, -v7, v22, v20
	v_fma_f32 v27, -v8, v23, v18
	v_fma_f32 v28, -v13, v24, v19
	v_mul_f32_e32 v25, v21, v17
	v_fmac_f32_e32 v22, v26, v9
	v_fmac_f32_e32 v23, v27, v15
	;; [unrolled: 1-line block ×3, first 2 shown]
	v_fma_f32 v29, -v14, v25, v21
	v_fma_f32 v7, -v7, v22, v20
	;; [unrolled: 1-line block ×4, first 2 shown]
	v_fmac_f32_e32 v25, v29, v17
	v_div_fmas_f32 v7, v7, v9, v22
	s_mov_b32 vcc_lo, s2
	v_div_fmas_f32 v8, v8, v15, v23
	s_mov_b32 vcc_lo, s3
	v_div_fixup_f32 v5, v7, v2, v5
	v_div_fmas_f32 v9, v13, v16, v24
	v_fma_f32 v13, -v14, v25, v21
	s_mov_b32 vcc_lo, s4
	v_div_fixup_f32 v8, v8, v2, v10
	v_div_fixup_f32 v9, v9, v2, v12
	v_div_fmas_f32 v12, v13, v17, v25
	v_trunc_f32_e32 v13, v9
	v_div_fixup_f32 v7, v12, v2, v11
	v_trunc_f32_e32 v11, v8
	v_trunc_f32_e32 v12, v5
	v_sub_f32_e32 v10, v9, v13
	v_trunc_f32_e32 v14, v7
	v_sub_f32_e32 v15, v8, v11
	v_sub_f32_e32 v17, v5, v12
	v_cmp_ge_f32_e64 s2, |v10|, 0.5
	v_sub_f32_e32 v16, v7, v14
	v_cndmask_b32_e64 v10, 0, 1.0, s2
	v_cmp_ge_f32_e64 s2, |v15|, 0.5
	v_bfi_b32 v9, 0x7fffffff, v10, v9
	v_cndmask_b32_e64 v10, 0, 1.0, s2
	v_cmp_ge_f32_e64 s2, |v16|, 0.5
	v_add_f32_e32 v9, v13, v9
	v_bfi_b32 v8, 0x7fffffff, v10, v8
	v_cndmask_b32_e64 v15, 0, 1.0, s2
	v_cmp_ge_f32_e64 s2, |v17|, 0.5
	v_mov_b32_e32 v10, 8
	v_cvt_i32_f32_e32 v9, v9
	v_add_f32_e32 v8, v11, v8
	v_bfi_b32 v7, 0x7fffffff, v15, v7
	v_cndmask_b32_e64 v13, 0, 1.0, s2
	v_and_b32_e32 v9, 0xff, v9
	v_cvt_i32_f32_e32 v8, v8
	v_add_f32_e32 v7, v14, v7
	v_bfi_b32 v5, 0x7fffffff, v13, v5
	v_lshlrev_b32_e32 v9, 16, v9
	v_lshlrev_b32_sdwa v8, v10, v8 dst_sel:DWORD dst_unused:UNUSED_PAD src0_sel:DWORD src1_sel:BYTE_0
	v_cvt_i32_f32_e32 v7, v7
	v_add_f32_e32 v5, v12, v5
	v_lshl_or_b32 v7, v7, 24, v9
	v_cvt_i32_f32_e32 v5, v5
	v_and_b32_e32 v5, 0xff, v5
	v_or3_b32 v7, v7, v8, v5
.LBB31_14:
	s_or_b32 exec_lo, exec_lo, s12
	ds_write_b32 v6, v7 offset:128
	s_and_saveexec_b32 s2, s1
	s_cbranch_execz .LBB31_16
; %bb.15:
	s_waitcnt lgkmcnt(1)
	v_add_f32_e32 v3, v3, v4
	ds_write_b64 v0, v[2:3] offset:288
.LBB31_16:
	s_or_b32 exec_lo, exec_lo, s2
.LBB31_17:
	s_or_b32 exec_lo, exec_lo, s5
	v_and_b32_e32 v35, 1, v39
	s_waitcnt lgkmcnt(0)
	s_waitcnt_vscnt null, 0x0
	s_barrier
	buffer_gl0_inv
	s_cmp_eq_u64 s[58:59], 0
	v_lshlrev_b32_e32 v0, 2, v35
	s_mov_b32 s73, s16
	ds_read2_b32 v[2:3], v0 offset1:2
	s_waitcnt lgkmcnt(0)
	buffer_store_dword v2, off, s[96:99], 0 offset:248 ; 4-byte Folded Spill
	buffer_store_dword v3, off, s[96:99], 0 offset:252 ; 4-byte Folded Spill
	ds_read2_b32 v[2:3], v0 offset0:4 offset1:6
	s_waitcnt lgkmcnt(0)
	buffer_store_dword v2, off, s[96:99], 0 offset:256 ; 4-byte Folded Spill
	buffer_store_dword v3, off, s[96:99], 0 offset:260 ; 4-byte Folded Spill
	ds_read2_b32 v[2:3], v0 offset0:8 offset1:10
	;; [unrolled: 4-line block ×31, first 2 shown]
	s_waitcnt lgkmcnt(0)
	buffer_store_dword v2, off, s[96:99], 0 offset:496 ; 4-byte Folded Spill
	buffer_store_dword v3, off, s[96:99], 0 offset:500 ; 4-byte Folded Spill
	ds_read_b128 v[2:5], v1 offset:256
	ds_read_b128 v[6:9], v1 offset:272
	;; [unrolled: 1-line block ×8, first 2 shown]
	s_waitcnt lgkmcnt(0)
	s_waitcnt_vscnt null, 0x0
	s_barrier
	buffer_gl0_inv
	s_cbranch_scc1 .LBB31_19
; %bb.18:
	s_load_dword s1, s[6:7], 0xd0
	s_mov_b32 s3, 0
	s_waitcnt lgkmcnt(0)
	s_mul_i32 s1, s1, s69
	s_add_i32 s2, s1, s8
	s_lshl_b64 s[2:3], s[2:3], 2
	s_add_u32 s2, s58, s2
	s_addc_u32 s3, s59, s3
	s_load_dword s73, s[2:3], 0x0
.LBB31_19:
	v_lshlrev_b32_e32 v241, 5, v36
	v_add_nc_u32_e32 v127, 0xa00, v34
	s_mov_b32 s80, 0xfeffffff
	s_mov_b32 s82, 0
	;; [unrolled: 1-line block ×3, first 2 shown]
	v_add_nc_u32_e32 v34, v241, v39
	s_mov_b32 s83, s82
	v_mov_b32_e32 v42, s80
	v_mov_b32_e32 v40, s82
	;; [unrolled: 1-line block ×4, first 2 shown]
	v_lshlrev_b32_e32 v1, 1, v34
	s_lshl_b32 s58, s68, 7
	s_waitcnt lgkmcnt(0)
	s_cmp_ge_i32 s58, s73
	buffer_store_dword v1, off, s[96:99], 0 offset:1116 ; 4-byte Folded Spill
	s_cbranch_scc1 .LBB31_47
; %bb.20:
	buffer_store_dword v30, off, s[96:99], 0 offset:1256 ; 4-byte Folded Spill
	buffer_store_dword v31, off, s[96:99], 0 offset:1260 ; 4-byte Folded Spill
	buffer_store_dword v32, off, s[96:99], 0 offset:1264 ; 4-byte Folded Spill
	buffer_store_dword v33, off, s[96:99], 0 offset:1268 ; 4-byte Folded Spill
	buffer_store_dword v26, off, s[96:99], 0 offset:1240 ; 4-byte Folded Spill
	buffer_store_dword v27, off, s[96:99], 0 offset:1244 ; 4-byte Folded Spill
	buffer_store_dword v28, off, s[96:99], 0 offset:1248 ; 4-byte Folded Spill
	buffer_store_dword v29, off, s[96:99], 0 offset:1252 ; 4-byte Folded Spill
	buffer_store_dword v22, off, s[96:99], 0 offset:1224 ; 4-byte Folded Spill
	buffer_store_dword v23, off, s[96:99], 0 offset:1228 ; 4-byte Folded Spill
	buffer_store_dword v24, off, s[96:99], 0 offset:1232 ; 4-byte Folded Spill
	buffer_store_dword v25, off, s[96:99], 0 offset:1236 ; 4-byte Folded Spill
	buffer_store_dword v18, off, s[96:99], 0 offset:1208 ; 4-byte Folded Spill
	buffer_store_dword v19, off, s[96:99], 0 offset:1212 ; 4-byte Folded Spill
	buffer_store_dword v20, off, s[96:99], 0 offset:1216 ; 4-byte Folded Spill
	buffer_store_dword v21, off, s[96:99], 0 offset:1220 ; 4-byte Folded Spill
	buffer_store_dword v14, off, s[96:99], 0 offset:1192 ; 4-byte Folded Spill
	buffer_store_dword v15, off, s[96:99], 0 offset:1196 ; 4-byte Folded Spill
	buffer_store_dword v16, off, s[96:99], 0 offset:1200 ; 4-byte Folded Spill
	buffer_store_dword v17, off, s[96:99], 0 offset:1204 ; 4-byte Folded Spill
	buffer_store_dword v10, off, s[96:99], 0 offset:1176 ; 4-byte Folded Spill
	buffer_store_dword v11, off, s[96:99], 0 offset:1180 ; 4-byte Folded Spill
	buffer_store_dword v12, off, s[96:99], 0 offset:1184 ; 4-byte Folded Spill
	buffer_store_dword v13, off, s[96:99], 0 offset:1188 ; 4-byte Folded Spill
	buffer_store_dword v6, off, s[96:99], 0 offset:1160 ; 4-byte Folded Spill
	buffer_store_dword v7, off, s[96:99], 0 offset:1164 ; 4-byte Folded Spill
	buffer_store_dword v8, off, s[96:99], 0 offset:1168 ; 4-byte Folded Spill
	buffer_store_dword v9, off, s[96:99], 0 offset:1172 ; 4-byte Folded Spill
	buffer_store_dword v2, off, s[96:99], 0 offset:1144 ; 4-byte Folded Spill
	buffer_store_dword v3, off, s[96:99], 0 offset:1148 ; 4-byte Folded Spill
	buffer_store_dword v4, off, s[96:99], 0 offset:1152 ; 4-byte Folded Spill
	buffer_store_dword v5, off, s[96:99], 0 offset:1156 ; 4-byte Folded Spill
	buffer_store_dword v34, off, s[96:99], 0 offset:1292 ; 4-byte Folded Spill
	buffer_store_dword v37, off, s[96:99], 0 offset:1284 ; 4-byte Folded Spill
	buffer_store_dword v36, off, s[96:99], 0 offset:1280 ; 4-byte Folded Spill
	s_clause 0x1
	s_load_dwordx4 s[64:67], s[6:7], 0x98
	s_load_dwordx2 s[84:85], s[6:7], 0x8c
	s_sub_i32 s1, 0, s10
	s_sub_i32 s2, 0, s9
	s_mul_i32 s1, s1, s17
	s_abs_i32 s3, s72
	s_mul_hi_u32 s1, s17, s1
	s_mul_i32 s2, s2, s13
	s_add_i32 s17, s17, s1
	s_ashr_i32 s4, s69, 31
	s_mul_hi_u32 s1, s13, s2
	s_mul_hi_u32 s2, s3, s17
	s_add_i32 s13, s13, s1
	s_mul_i32 s1, s2, s10
	s_ashr_i32 s8, s72, 31
	s_ashr_i32 s11, s11, 31
	s_sub_i32 s1, s3, s1
	s_abs_i32 s5, s69
	s_xor_b32 s8, s8, s11
	s_add_i32 s11, s2, 1
	s_waitcnt lgkmcnt(0)
	s_mul_hi_u32 s12, s64, s69
	s_mul_i32 s14, s64, s4
	s_mul_i32 s15, s65, s69
	s_add_i32 s87, s12, s14
	s_sub_i32 s3, s1, s10
	s_add_i32 s87, s87, s15
	s_cmp_ge_u32 s1, s10
	v_and_b32_e32 v34, 0x7e, v39
	s_cselect_b32 s2, s11, s2
	s_cselect_b32 s1, s3, s1
	s_add_i32 s3, s2, 1
	s_cmp_ge_u32 s1, s10
	s_load_dwordx2 s[10:11], s[6:7], 0xc8
	s_cselect_b32 s1, s3, s2
	s_mul_hi_u32 s2, s5, s13
	s_xor_b32 s1, s1, s8
	s_mul_i32 s2, s2, s9
	s_sub_i32 s90, s1, s8
	s_sub_i32 s1, s5, s2
	s_mul_i32 s88, s90, s85
	s_mul_i32 s90, s90, s67
	s_ashr_i32 s89, s88, 31
	s_ashr_i32 s91, s90, 31
	s_sub_i32 s2, s1, s9
	s_cmp_ge_u32 s1, s9
	s_load_dword s5, s[6:7], 0xd4
	s_cselect_b32 s1, s2, s1
	s_mul_i32 s65, s19, s74
	s_sub_i32 s2, s1, s9
	s_cmp_ge_u32 s1, s9
	v_add_nc_u32_e32 v64, v241, v34
	s_cselect_b32 s1, s2, s1
	s_load_dwordx2 s[2:3], s[6:7], 0xa8
	s_xor_b32 s1, s1, s4
	s_ashr_i32 s67, s65, 31
	s_sub_i32 s1, s1, s4
	v_add_nc_u32_e32 v36, s16, v64
	s_ashr_i32 s8, s1, 31
	s_waitcnt lgkmcnt(0)
	s_mul_hi_u32 s9, s10, s1
	s_mul_i32 s8, s10, s8
	s_mul_i32 s11, s11, s1
	s_add_i32 s8, s9, s8
	s_mul_i32 s10, s10, s1
	s_add_i32 s11, s8, s11
	s_cmp_lg_u64 s[54:55], 0
	v_ashrrev_i32_e32 v37, 31, v36
	s_cselect_b32 s1, -1, 0
	s_lshl_b32 s76, s5, 7
	s_cmp_lt_i32 s74, s70
	s_mov_b32 s59, s82
	s_cselect_b32 s5, -1, 0
	s_or_b32 s8, s74, 1
	s_and_b32 s85, s1, s5
	s_cmp_lt_i32 s8, s70
	v_add_co_u32 v40, s8, s16, v64
	s_cselect_b32 s5, -1, 0
	v_bfe_u32 v44, v39, 3, 27
	s_and_b32 s86, s1, s5
	s_ashr_i32 s5, s16, 31
	s_add_u32 s92, s50, s88
	v_cmp_eq_u32_e64 s1, 0, v35
	v_add_co_ci_u32_e64 v41, null, s5, 0, s8
	s_addc_u32 s93, s51, s89
	s_lshl_b64 s[8:9], s[58:59], 1
	v_lshlrev_b64 v[35:36], 1, v[36:37]
	s_add_u32 s5, s54, s8
	s_addc_u32 s12, s55, s9
	s_add_u32 s5, s5, s10
	s_addc_u32 s12, s12, s11
	buffer_store_dword v38, off, s[96:99], 0 offset:1288 ; 4-byte Folded Spill
	v_add_co_u32 v1, vcc_lo, s5, v35
	v_add_nc_u32_e32 v38, 0x80, v38
	v_mul_u32_u24_e32 v35, 18, v44
	v_mul_lo_u32 v42, v241, s66
	buffer_store_dword v1, off, s[96:99], 0 offset:236 ; 4-byte Folded Spill
	v_add_co_ci_u32_e64 v1, null, s12, v36, vcc_lo
	v_mul_hi_u32_u24_e32 v36, 18, v44
	v_lshrrev_b32_e32 v46, 5, v38
	s_mov_b32 s77, s82
	v_and_b32_e32 v47, 12, v38
	s_lshl_b64 s[78:79], s[76:77], 1
	v_mad_u64_u32 v[44:45], null, s2, s69, v[35:36]
	s_add_u32 s8, s10, s8
	v_lshlrev_b64 v[37:38], 1, v[40:41]
	s_addc_u32 s9, s11, s9
	s_mul_i32 s3, s3, s69
	s_mul_i32 s4, s2, s4
	v_mul_hi_u32_u24_e32 v41, 18, v46
	v_mul_u32_u24_e32 v40, 18, v46
	s_add_u32 s59, s54, s8
	s_addc_u32 s54, s55, s9
	s_add_i32 s4, s4, s3
	v_ashrrev_i32_e32 v43, 31, v42
	v_add_nc_u32_e32 v45, s4, v45
	v_add_co_u32 v7, vcc_lo, s5, v37
	v_mad_u64_u32 v[50:51], null, s2, s69, v[40:41]
	v_add_co_ci_u32_e64 v8, null, s12, v38, vcc_lo
	v_add_co_u32 v9, vcc_lo, v44, v42
	v_add_co_ci_u32_e64 v10, null, v45, v43, vcc_lo
	v_add_co_u32 v48, vcc_lo, v44, v47
	v_add_co_ci_u32_e64 v49, null, 0, v45, vcc_lo
	v_add_nc_u32_e32 v51, s4, v51
	v_add_co_u32 v11, vcc_lo, v48, v42
	v_add_co_ci_u32_e64 v12, null, v49, v43, vcc_lo
	v_add_co_u32 v56, vcc_lo, v50, v47
	v_add_co_ci_u32_e64 v57, null, 0, v51, vcc_lo
	v_add_co_u32 v17, vcc_lo, v50, v42
	v_add_nc_u32_e32 v54, s66, v42
	v_add_co_ci_u32_e64 v18, null, v51, v43, vcc_lo
	v_add_co_u32 v13, vcc_lo, v56, v42
	v_add_co_ci_u32_e64 v14, null, v57, v43, vcc_lo
	v_add_co_u32 v81, vcc_lo, v44, s90
	v_ashrrev_i32_e32 v55, 31, v54
	v_add_co_ci_u32_e64 v66, null, s91, v45, vcc_lo
	v_add_co_u32 v80, vcc_lo, v48, s90
	v_add_co_ci_u32_e64 v73, null, s91, v49, vcc_lo
	v_add_co_u32 v15, vcc_lo, v81, v54
	;; [unrolled: 2-line block ×3, first 2 shown]
	v_add_nc_u32_e32 v52, 31, v241
	v_add_co_ci_u32_e64 v20, null, v73, v55, vcc_lo
	v_add_co_u32 v85, vcc_lo, v50, s90
	v_add_co_ci_u32_e64 v83, null, s91, v51, vcc_lo
	v_mul_lo_u32 v62, s66, v52
	v_add_co_u32 v23, vcc_lo, v85, v54
	v_add_co_ci_u32_e64 v24, null, v83, v55, vcc_lo
	v_add_co_u32 v86, vcc_lo, v56, s90
	v_add_co_ci_u32_e64 v84, null, s91, v57, vcc_lo
	v_ashrrev_i32_e32 v57, 31, v62
	v_add_co_u32 v25, vcc_lo, v86, v54
	v_add_nc_u32_e32 v56, 30, v241
	v_add_co_ci_u32_e64 v26, null, v84, v55, vcc_lo
	v_add_co_u32 v21, vcc_lo, v86, v62
	v_add_co_ci_u32_e64 v22, null, v84, v57, vcc_lo
	v_add_co_u32 v29, vcc_lo, v85, v62
	v_mul_lo_u32 v63, s66, v56
	v_add_co_ci_u32_e64 v30, null, v83, v57, vcc_lo
	v_add_co_u32 v31, vcc_lo, v80, v62
	v_add_co_ci_u32_e64 v32, null, v73, v57, vcc_lo
	v_add_co_u32 v27, vcc_lo, v81, v62
	v_add_nc_u32_e32 v62, 29, v241
	v_ashrrev_i32_e32 v67, 31, v63
	v_add_co_ci_u32_e64 v28, null, v66, v57, vcc_lo
	v_add_co_u32 v77, vcc_lo, v86, v63
	v_mul_lo_u32 v74, s66, v62
	v_add_nc_u32_e32 v78, 28, v241
	v_add_co_ci_u32_e64 v69, null, v84, v67, vcc_lo
	v_add_co_u32 v60, vcc_lo, v85, v63
	v_add_co_ci_u32_e64 v62, null, v83, v67, vcc_lo
	v_add_co_u32 v79, vcc_lo, v80, v63
	v_ashrrev_i32_e32 v75, 31, v74
	v_mul_lo_u32 v87, s66, v78
	v_add_co_ci_u32_e64 v90, null, v73, v67, vcc_lo
	v_add_co_u32 v33, vcc_lo, v81, v63
	v_add_nc_u32_e32 v197, s66, v54
	v_add_co_ci_u32_e64 v54, null, v66, v67, vcc_lo
	v_add_co_u32 v70, vcc_lo, v86, v74
	v_add_nc_u32_e32 v89, 27, v241
	v_add_co_ci_u32_e64 v72, null, v84, v75, vcc_lo
	v_add_co_u32 v91, vcc_lo, v85, v74
	v_add_co_ci_u32_e64 v93, null, v83, v75, vcc_lo
	v_add_co_u32 v94, vcc_lo, v80, v74
	v_ashrrev_i32_e32 v88, 31, v87
	v_mul_lo_u32 v89, s66, v89
	v_add_co_ci_u32_e64 v100, null, v73, v75, vcc_lo
	v_add_co_u32 v74, vcc_lo, v81, v74
	v_add_co_ci_u32_e64 v75, null, v66, v75, vcc_lo
	v_add_co_u32 v102, vcc_lo, v86, v87
	v_add_nc_u32_e32 v95, 26, v241
	v_add_co_ci_u32_e64 v92, null, v84, v88, vcc_lo
	v_add_co_u32 v114, vcc_lo, v85, v87
	v_add_co_ci_u32_e64 v116, null, v83, v88, vcc_lo
	v_add_co_u32 v169, vcc_lo, v80, v87
	v_ashrrev_i32_e32 v96, 31, v89
	v_mul_lo_u32 v95, s66, v95
	v_add_co_ci_u32_e64 v97, null, v73, v88, vcc_lo
	v_add_co_u32 v117, vcc_lo, v81, v87
	;; [unrolled: 11-line block ×4, first 2 shown]
	v_add_co_ci_u32_e64 v248, null, v66, v104, vcc_lo
	v_add_co_u32 v110, vcc_lo, v86, v103
	v_add_co_ci_u32_e64 v109, null, v84, v112, vcc_lo
	v_add_co_u32 v249, vcc_lo, v85, v103
	v_add_nc_u32_e32 v118, 23, v241
	v_add_co_ci_u32_e64 v251, null, v83, v112, vcc_lo
	v_add_co_u32 v113, vcc_lo, v80, v103
	v_ashrrev_i32_e32 v119, 31, v111
	v_add_co_ci_u32_e64 v122, null, v73, v112, vcc_lo
	v_add_co_u32 v253, vcc_lo, v81, v103
	v_add_co_ci_u32_e64 v254, null, v66, v112, vcc_lo
	v_mul_lo_u32 v118, s66, v118
	v_add_co_u32 v125, vcc_lo, v86, v111
	v_add_co_ci_u32_e64 v5, null, v84, v119, vcc_lo
	v_add_co_u32 v130, vcc_lo, v85, v111
	v_add_co_ci_u32_e64 v134, null, v83, v119, vcc_lo
	v_add_co_u32 v6, vcc_lo, v80, v111
	v_add_nc_u32_e32 v120, 22, v241
	v_add_co_ci_u32_e64 v4, null, v73, v119, vcc_lo
	v_add_co_u32 v3, vcc_lo, v81, v111
	buffer_store_dword v1, off, s[96:99], 0 offset:240 ; 4-byte Folded Spill
	v_add_co_ci_u32_e64 v1, null, v66, v119, vcc_lo
	v_ashrrev_i32_e32 v119, 31, v118
	v_mul_lo_u32 v120, s66, v120
	v_add_co_u32 v131, vcc_lo, v86, v118
	v_add_nc_u32_e32 v121, 21, v241
	v_add_co_ci_u32_e64 v132, null, v84, v119, vcc_lo
	v_add_co_u32 v166, vcc_lo, v85, v118
	v_add_co_ci_u32_e64 v170, null, v83, v119, vcc_lo
	v_add_co_u32 v135, vcc_lo, v80, v118
	;; [unrolled: 2-line block ×3, first 2 shown]
	v_ashrrev_i32_e32 v118, 31, v120
	v_add_co_ci_u32_e64 v139, null, v66, v119, vcc_lo
	v_mul_lo_u32 v119, s66, v121
	v_add_co_u32 v140, vcc_lo, v86, v120
	v_add_co_ci_u32_e64 v141, null, v84, v118, vcc_lo
	v_add_co_u32 v142, vcc_lo, v85, v120
	v_add_co_ci_u32_e64 v143, null, v83, v118, vcc_lo
	;; [unrolled: 2-line block ×4, first 2 shown]
	v_ashrrev_i32_e32 v118, 31, v119
	v_add_co_u32 v148, vcc_lo, v86, v119
	v_add_nc_u32_e32 v121, 20, v241
	v_add_nc_u32_e32 v136, s66, v197
	v_add_co_ci_u32_e64 v149, null, v84, v118, vcc_lo
	v_add_co_u32 v161, vcc_lo, v85, v119
	v_add_co_ci_u32_e64 v151, null, v83, v118, vcc_lo
	v_add_co_u32 v152, vcc_lo, v80, v119
	;; [unrolled: 2-line block ×3, first 2 shown]
	v_mul_lo_u32 v120, s66, v121
	v_add_co_ci_u32_e64 v155, null, v66, v118, vcc_lo
	v_add_nc_u32_e32 v118, 19, v241
	buffer_store_dword v1, off, s[96:99], 0 offset:28 ; 4-byte Folded Spill
	buffer_store_dword v39, off, s[96:99], 0 offset:1276 ; 4-byte Folded Spill
	v_ashrrev_i32_e32 v239, 31, v136
	v_ashrrev_i32_e32 v235, 31, v197
	v_mul_lo_u32 v118, s66, v118
	v_ashrrev_i32_e32 v119, 31, v120
	v_add_co_u32 v156, vcc_lo, v85, v120
	v_add_co_u32 v157, s2, v80, v120
	v_add_co_u32 v237, s3, v81, v120
	;; [unrolled: 1-line block ×3, first 2 shown]
	v_add_co_ci_u32_e64 v160, null, v84, v119, s4
	v_add_co_ci_u32_e64 v115, null, v83, v119, vcc_lo
	v_add_co_ci_u32_e64 v76, null, v73, v119, s2
	v_add_co_ci_u32_e64 v228, null, v66, v119, s3
	v_ashrrev_i32_e32 v119, 31, v118
	v_add_co_u32 v233, vcc_lo, v85, v118
	v_add_co_u32 v133, s2, v80, v118
	v_add_co_u32 v1, s3, v81, v118
	;; [unrolled: 1-line block ×3, first 2 shown]
	v_add_nc_u32_e32 v118, s66, v136
	v_add_co_ci_u32_e64 v163, null, v84, v119, s4
	v_add_co_ci_u32_e64 v129, null, v83, v119, vcc_lo
	v_add_co_ci_u32_e64 v123, null, v73, v119, s2
	v_add_co_ci_u32_e64 v171, null, v66, v119, s3
	v_add_nc_u32_e32 v119, s66, v118
	buffer_store_dword v1, off, s[96:99], 0 offset:200 ; 4-byte Folded Spill
	v_add_co_u32 v2, s36, v86, v118
	v_add_co_u32 v158, s37, v85, v118
	v_add_nc_u32_e32 v120, s66, v119
	v_ashrrev_i32_e32 v255, 31, v119
	v_add_co_u32 v162, s35, v81, v119
	buffer_store_dword v2, off, s[96:99], 0 offset:44 ; 4-byte Folded Spill
	v_add_nc_u32_e32 v121, s66, v120
	v_ashrrev_i32_e32 v252, 31, v120
	v_add_co_u32 v2, s43, v86, v136
	v_add_co_u32 v111, s39, v81, v118
	v_add_nc_u32_e32 v172, s66, v121
	v_ashrrev_i32_e32 v247, 31, v121
	buffer_store_dword v2, off, s[96:99], 0 offset:80 ; 4-byte Folded Spill
	v_add_co_u32 v2, s45, v86, v197
	v_add_nc_u32_e32 v173, s66, v172
	v_ashrrev_i32_e32 v243, 31, v172
	v_add_co_u32 v65, s40, v81, v197
	buffer_store_dword v2, off, s[96:99], 0 offset:48 ; 4-byte Folded Spill
	v_add_nc_u32_e32 v174, s66, v173
	v_ashrrev_i32_e32 v238, 31, v173
	v_add_co_u32 v168, s18, v81, v173
	v_add_nc_u32_e32 v175, s66, v174
	v_ashrrev_i32_e32 v234, 31, v174
	v_add_nc_u32_e32 v176, s66, v175
	v_ashrrev_i32_e32 v230, 31, v175
	;; [unrolled: 2-line block ×4, first 2 shown]
	v_add_co_u32 v40, s44, v86, v179
	v_add_co_u32 v42, s49, v85, v179
	v_add_nc_u32_e32 v178, s66, v177
	v_add_co_ci_u32_e64 v39, null, v84, v236, s44
	v_add_co_u32 v2, s44, v85, v197
	v_add_nc_u32_e32 v180, s66, v178
	v_add_co_u32 v51, s41, v81, v179
	buffer_store_dword v2, off, s[96:99], 0 offset:36 ; 4-byte Folded Spill
	v_add_co_u32 v2, s47, v85, v136
	v_add_nc_u32_e32 v181, s66, v180
	v_add_co_ci_u32_e64 v41, null, v83, v236, s49
	buffer_store_dword v2, off, s[96:99], 0 offset:68 ; 4-byte Folded Spill
	v_add_co_u32 v2, s48, v80, v136
	v_add_nc_u32_e32 v182, s66, v181
	v_add_co_u32 v179, s49, v80, v179
	buffer_store_dword v2, off, s[96:99], 0 offset:84 ; 4-byte Folded Spill
	v_add_co_ci_u32_e64 v37, null, v73, v236, s49
	v_ashrrev_i32_e32 v183, 31, v182
	v_add_co_u32 v184, vcc_lo, v85, v182
	v_add_co_u32 v186, s2, v80, v182
	v_add_co_u32 v187, s3, v81, v182
	;; [unrolled: 1-line block ×3, first 2 shown]
	v_ashrrev_i32_e32 v182, 31, v181
	v_add_co_ci_u32_e64 v190, null, v84, v183, s4
	v_add_co_ci_u32_e64 v191, null, v83, v183, vcc_lo
	v_add_co_ci_u32_e64 v192, null, v73, v183, s2
	v_add_co_ci_u32_e64 v183, null, v66, v183, s3
	v_add_co_u32 v193, vcc_lo, v85, v181
	v_add_co_u32 v194, s2, v80, v181
	v_add_co_u32 v195, s3, v81, v181
	;; [unrolled: 1-line block ×3, first 2 shown]
	v_ashrrev_i32_e32 v181, 31, v180
	v_add_co_ci_u32_e64 v198, null, v84, v182, s4
	v_add_co_ci_u32_e64 v199, null, v83, v182, vcc_lo
	v_add_co_ci_u32_e64 v200, null, v73, v182, s2
	v_add_co_ci_u32_e64 v202, null, v66, v182, s3
	v_add_co_u32 v203, vcc_lo, v85, v180
	v_add_co_u32 v204, s2, v80, v180
	v_add_co_u32 v205, s3, v81, v180
	;; [unrolled: 1-line block ×3, first 2 shown]
	v_add_co_ci_u32_e64 v206, null, v84, v181, s4
	v_add_co_ci_u32_e64 v82, null, v83, v181, vcc_lo
	v_add_co_ci_u32_e64 v224, null, v73, v181, s2
	v_add_co_ci_u32_e64 v209, null, v66, v181, s3
	v_ashrrev_i32_e32 v181, 31, v178
	v_add_co_u32 v212, s3, v81, v178
	v_add_co_u32 v210, vcc_lo, v85, v178
	v_add_co_u32 v211, s2, v80, v178
	v_add_co_u32 v213, s4, v86, v178
	v_add_co_ci_u32_e64 v217, null, v66, v181, s3
	v_ashrrev_i32_e32 v178, 31, v177
	v_add_co_u32 v1, s3, v81, v177
	v_add_co_ci_u32_e64 v215, null, v83, v181, vcc_lo
	v_add_co_u32 v250, vcc_lo, v85, v177
	buffer_store_dword v1, off, s[96:99], 0 offset:204 ; 4-byte Folded Spill
	v_add_co_ci_u32_e64 v220, null, v83, v178, vcc_lo
	v_add_co_u32 v1, vcc_lo, v86, v176
	v_add_co_ci_u32_e64 v216, null, v73, v181, s2
	v_add_co_u32 v165, s2, v80, v177
	v_add_co_ci_u32_e64 v232, null, v73, v178, s2
	buffer_store_dword v1, off, s[96:99], 0 offset:196 ; 4-byte Folded Spill
	v_add_co_u32 v1, s2, v85, v176
	v_add_co_ci_u32_e64 v231, null, v66, v178, s3
	v_add_co_ci_u32_e64 v214, null, v84, v181, s4
	buffer_store_dword v1, off, s[96:99], 0 offset:172 ; 4-byte Folded Spill
	v_add_co_u32 v1, s3, v80, v176
	v_add_co_u32 v181, s4, v86, v177
	v_add_co_ci_u32_e64 v222, null, v84, v178, s4
	buffer_store_dword v1, off, s[96:99], 0 offset:180 ; 4-byte Folded Spill
	v_add_co_u32 v1, s4, v81, v176
	v_add_co_u32 v178, s42, v81, v136
	v_add_co_ci_u32_e64 v44, null, v66, v236, s41
	buffer_store_dword v1, off, s[96:99], 0 offset:156 ; 4-byte Folded Spill
	v_add_co_u32 v1, s5, v86, v175
	v_add_co_ci_u32_e64 v45, null, v73, v226, s3
	v_add_co_ci_u32_e64 v164, null, v66, v226, s4
	buffer_store_dword v1, off, s[96:99], 0 offset:176 ; 4-byte Folded Spill
	v_add_co_u32 v1, s8, v85, v175
	v_add_co_ci_u32_e64 v43, null, v84, v226, vcc_lo
	v_add_co_ci_u32_e64 v46, null, v83, v226, s2
	buffer_store_dword v1, off, s[96:99], 0 offset:148 ; 4-byte Folded Spill
	v_add_co_u32 v1, s9, v80, v175
	v_add_co_ci_u32_e64 v48, null, v73, v230, s9
	v_add_co_ci_u32_e64 v49, null, v83, v230, s8
	buffer_store_dword v1, off, s[96:99], 0 offset:160 ; 4-byte Folded Spill
	v_add_co_u32 v1, s10, v81, v175
	v_add_co_u32 v175, s38, v80, v118
	v_add_co_ci_u32_e64 v146, null, v66, v230, s10
	buffer_store_dword v1, off, s[96:99], 0 offset:140 ; 4-byte Folded Spill
	v_add_co_u32 v1, s11, v86, v174
	v_add_co_ci_u32_e64 v47, null, v84, v230, s5
	v_add_co_ci_u32_e64 v50, null, v84, v234, s11
	buffer_store_dword v1, off, s[96:99], 0 offset:152 ; 4-byte Folded Spill
	v_add_co_u32 v1, s12, v85, v174
	v_add_co_ci_u32_e64 v53, null, v83, v234, s12
	s_mul_i32 s8, s64, s69
	buffer_store_dword v1, off, s[96:99], 0 offset:132 ; 4-byte Folded Spill
	v_add_co_u32 v1, s13, v80, v174
	v_add_co_ci_u32_e64 v52, null, v73, v234, s13
	v_add_co_u32 v0, s9, s8, v0
	buffer_store_dword v1, off, s[96:99], 0 offset:144 ; 4-byte Folded Spill
	v_add_co_u32 v1, s14, v81, v174
	v_add_co_ci_u32_e64 v229, null, v66, v234, s14
	s_mul_i32 s2, s66, s58
	buffer_store_dword v1, off, s[96:99], 0 offset:124 ; 4-byte Folded Spill
	v_add_co_u32 v1, s15, v86, v173
	s_mul_i32 s3, s84, s58
	s_mul_i32 s4, s76, s84
	;; [unrolled: 1-line block ×3, first 2 shown]
	buffer_store_dword v1, off, s[96:99], 0 offset:136 ; 4-byte Folded Spill
	v_add_co_u32 v1, s16, v85, v173
	buffer_store_dword v1, off, s[96:99], 0 offset:116 ; 4-byte Folded Spill
	v_add_co_u32 v1, s17, v80, v173
	v_add_co_ci_u32_e64 v207, null, v73, v238, s17
	buffer_store_dword v1, off, s[96:99], 0 offset:128 ; 4-byte Folded Spill
	v_add_co_u32 v1, s19, v86, v172
	buffer_store_dword v1, off, s[96:99], 0 offset:120 ; 4-byte Folded Spill
	v_add_co_u32 v1, s20, v85, v172
	v_add_co_ci_u32_e64 v2, null, v83, v243, s20
	buffer_store_dword v1, off, s[96:99], 0 offset:104 ; 4-byte Folded Spill
	v_add_co_u32 v1, s21, v80, v172
	buffer_store_dword v2, off, s[96:99], 0 offset:584 ; 4-byte Folded Spill
	v_add_co_ci_u32_e64 v2, null, v73, v243, s21
	buffer_store_dword v1, off, s[96:99], 0 offset:112 ; 4-byte Folded Spill
	v_add_co_u32 v1, s22, v81, v172
	v_add_co_ci_u32_e64 v34, null, v66, v243, s22
	buffer_store_dword v1, off, s[96:99], 0 offset:96 ; 4-byte Folded Spill
	v_add_co_u32 v1, s23, v86, v121
	buffer_store_dword v34, off, s[96:99], 0 offset:576 ; 4-byte Folded Spill
	v_add_co_ci_u32_e64 v34, null, v84, v247, s23
	buffer_store_dword v1, off, s[96:99], 0 offset:108 ; 4-byte Folded Spill
	v_add_co_u32 v1, s24, v85, v121
	buffer_store_dword v34, off, s[96:99], 0 offset:580 ; 4-byte Folded Spill
	;; [unrolled: 4-line block ×11, first 2 shown]
	v_add_co_ci_u32_e64 v34, null, v73, v255, s34
	buffer_store_dword v1, off, s[96:99], 0 offset:56 ; 4-byte Folded Spill
	v_ashrrev_i32_e32 v1, 31, v118
	v_mbcnt_lo_u32_b32 v85, -1, 0
	buffer_store_dword v34, off, s[96:99], 0 offset:232 ; 4-byte Folded Spill
	v_add_co_ci_u32_e64 v34, null, v66, v255, s35
	v_add_co_u32 v81, s46, v80, v197
	v_add_co_ci_u32_e64 v121, null, v66, v238, s18
	buffer_store_dword v34, off, s[96:99], 0 offset:220 ; 4-byte Folded Spill
	v_add_co_ci_u32_e64 v34, null, v84, v1, s36
	v_add_co_ci_u32_e64 v255, null, v66, v1, s39
	v_xor_b32_e32 v80, 1, v85
	buffer_store_dword v34, off, s[96:99], 0 offset:224 ; 4-byte Folded Spill
	v_add_co_ci_u32_e64 v34, null, v83, v1, s37
	v_add_co_ci_u32_e64 v119, null, v83, v238, s16
	;; [unrolled: 1-line block ×3, first 2 shown]
	buffer_store_dword v34, off, s[96:99], 0 offset:208 ; 4-byte Folded Spill
	v_add_co_ci_u32_e64 v34, null, v73, v1, s38
	v_add_co_ci_u32_e64 v1, null, v73, v235, s46
	;; [unrolled: 1-line block ×3, first 2 shown]
	buffer_store_dword v34, off, s[96:99], 0 offset:212 ; 4-byte Folded Spill
	v_add_co_ci_u32_e64 v34, null, v73, v239, s48
	v_add_co_ci_u32_e64 v73, null, v66, v235, s40
	buffer_store_dword v34, off, s[96:99], 0 offset:188 ; 4-byte Folded Spill
	v_add_co_ci_u32_e64 v34, null, v66, v239, s42
	v_and_b32_e32 v66, 30, v85
	buffer_store_dword v34, off, s[96:99], 0 offset:164 ; 4-byte Folded Spill
	v_add_co_ci_u32_e64 v34, null, v84, v239, s43
	v_add_nc_u32_e32 v66, 2, v66
	buffer_store_dword v34, off, s[96:99], 0 offset:216 ; 4-byte Folded Spill
	v_add_co_ci_u32_e64 v34, null, v83, v239, s47
	v_cmp_lt_i32_e32 vcc_lo, v80, v66
	buffer_store_dword v34, off, s[96:99], 0 offset:192 ; 4-byte Folded Spill
	v_add_co_ci_u32_e64 v34, null, v84, v235, s45
	v_cndmask_b32_e32 v66, v85, v80, vcc_lo
	v_xor_b32_e32 v80, 4, v85
	v_xor_b32_e32 v84, 16, v85
	buffer_store_dword v34, off, s[96:99], 0 offset:184 ; 4-byte Folded Spill
	v_add_co_ci_u32_e64 v34, null, v83, v235, s44
	v_xor_b32_e32 v83, 8, v85
	buffer_store_dword v34, off, s[96:99], 0 offset:168 ; 4-byte Folded Spill
	v_lshlrev_b32_e32 v34, 2, v66
	v_xor_b32_e32 v66, 2, v85
	buffer_store_dword v34, off, s[96:99], 0 offset:1140 ; 4-byte Folded Spill
	v_cmp_gt_i32_e32 vcc_lo, 32, v66
	v_lshlrev_b32_e32 v34, 1, v241
	v_cndmask_b32_e32 v66, v85, v66, vcc_lo
	v_cmp_gt_i32_e32 vcc_lo, 32, v80
	buffer_store_dword v34, off, s[96:99], 0 offset:1136 ; 4-byte Folded Spill
	v_mul_lo_u32 v34, v64, s84
	v_lshlrev_b32_e32 v64, 1, v64
	v_lshlrev_b32_e32 v66, 2, v66
	v_cndmask_b32_e32 v80, v85, v80, vcc_lo
	v_cmp_gt_i32_e32 vcc_lo, 32, v83
	buffer_store_dword v66, off, s[96:99], 0 offset:1120 ; 4-byte Folded Spill
	v_lshlrev_b32_e32 v66, 2, v80
	v_cndmask_b32_e32 v83, v85, v83, vcc_lo
	v_cmp_gt_i32_e32 vcc_lo, 32, v84
	v_add_nc_u32_e32 v80, s84, v34
	buffer_store_dword v66, off, s[96:99], 0 offset:1124 ; 4-byte Folded Spill
	v_lshlrev_b32_e32 v66, 2, v83
	v_cndmask_b32_e32 v84, v85, v84, vcc_lo
	v_ashrrev_i32_e32 v83, 31, v80
	v_add_co_u32 v85, vcc_lo, v0, v80
	buffer_store_dword v66, off, s[96:99], 0 offset:1128 ; 4-byte Folded Spill
	v_lshlrev_b32_e32 v66, 2, v84
	v_add_co_ci_u32_e64 v84, null, s87, 0, s9
	v_add_co_u32 v64, s9, s59, v64
	buffer_store_dword v66, off, s[96:99], 0 offset:1132 ; 4-byte Folded Spill
	v_add_co_ci_u32_e64 v86, null, v84, v83, vcc_lo
	v_add_co_u32 v85, vcc_lo, s92, v85
	buffer_store_dword v85, off, s[96:99], 0 offset:4 ; 4-byte Folded Spill
	v_add_co_ci_u32_e64 v85, null, s93, v86, vcc_lo
	v_add_co_u32 v64, vcc_lo, v64, 2
	buffer_store_dword v85, off, s[96:99], 0 offset:8 ; 4-byte Folded Spill
	v_add_co_ci_u32_e64 v85, null, s54, 0, s9
	buffer_store_dword v64, off, s[96:99], 0 offset:12 ; 4-byte Folded Spill
	s_add_u32 s9, s52, s90
	s_addc_u32 s10, s53, s91
	v_add_co_ci_u32_e64 v64, null, 0, v85, vcc_lo
	v_add_co_u32 v7, vcc_lo, v7, 2
	s_add_u32 s11, s92, s8
	buffer_store_dword v64, off, s[96:99], 0 offset:16 ; 4-byte Folded Spill
	s_addc_u32 s12, s93, s87
	buffer_store_dword v7, off, s[96:99], 0 offset:524 ; 4-byte Folded Spill
	v_add_co_ci_u32_e64 v7, null, 0, v8, vcc_lo
	v_add_co_u32 v64, vcc_lo, s9, v11
	v_add_co_ci_u32_e64 v85, null, s10, v12, vcc_lo
	buffer_store_dword v7, off, s[96:99], 0 offset:520 ; 4-byte Folded Spill
	v_add_co_u32 v7, vcc_lo, s9, v9
	s_add_u32 s8, s8, s88
	buffer_load_dword v11, off, s[96:99], 0 offset:92 ; 4-byte Folded Reload
	buffer_store_dword v7, off, s[96:99], 0 offset:528 ; 4-byte Folded Spill
	v_add_co_ci_u32_e64 v7, null, s10, v10, vcc_lo
	buffer_store_dword v7, off, s[96:99], 0 offset:532 ; 4-byte Folded Spill
	v_add_co_u32 v7, vcc_lo, v64, 2
	buffer_store_dword v7, off, s[96:99], 0 offset:536 ; 4-byte Folded Spill
	v_add_co_ci_u32_e64 v7, null, 0, v85, vcc_lo
	buffer_store_dword v7, off, s[96:99], 0 offset:540 ; 4-byte Folded Spill
	v_add_co_u32 v7, vcc_lo, s9, v17
	buffer_store_dword v7, off, s[96:99], 0 offset:544 ; 4-byte Folded Spill
	v_add_co_ci_u32_e64 v7, null, s10, v18, vcc_lo
	v_add_co_u32 v64, vcc_lo, s11, v80
	v_ashrrev_i32_e32 v80, 31, v34
	buffer_store_dword v7, off, s[96:99], 0 offset:548 ; 4-byte Folded Spill
	buffer_load_dword v7, off, s[96:99], 0 offset:100 ; 4-byte Folded Reload
	buffer_store_dword v64, off, s[96:99], 0 offset:20 ; 4-byte Folded Spill
	v_add_co_ci_u32_e64 v64, null, s12, v83, vcc_lo
	v_add_co_u32 v0, vcc_lo, v0, s88
	buffer_store_dword v64, off, s[96:99], 0 offset:24 ; 4-byte Folded Spill
	v_add_co_ci_u32_e64 v64, null, s89, v84, vcc_lo
	v_add_co_u32 v0, vcc_lo, v0, v34
	v_add_co_ci_u32_e64 v64, null, v64, v80, vcc_lo
	v_add_co_u32 v83, vcc_lo, s9, v13
	;; [unrolled: 2-line block ×12, first 2 shown]
	s_addc_u32 s9, s87, s89
	v_add_co_ci_u32_e64 v65, null, s53, v73, vcc_lo
	v_add_co_u32 v66, vcc_lo, v0, 2
	s_add_u32 s8, s50, s8
	v_add_co_ci_u32_e64 v67, null, 0, v1, vcc_lo
	s_addc_u32 s9, s51, s9
	v_add_co_u32 v0, vcc_lo, s8, v34
	v_add_co_ci_u32_e64 v1, null, s9, v80, vcc_lo
	v_add_co_u32 v34, vcc_lo, s52, v21
	v_add_co_ci_u32_e64 v73, null, s53, v22, vcc_lo
	;; [unrolled: 2-line block ×50, first 2 shown]
	v_add_co_u32 v3, vcc_lo, s52, v3
	s_clause 0x3
	buffer_load_dword v15, off, s[96:99], 0 offset:76
	buffer_load_dword v19, off, s[96:99], 0 offset:64
	buffer_load_dword v23, off, s[96:99], 0 offset:56
	buffer_load_dword v27, off, s[96:99], 0 offset:44
	buffer_store_dword v3, off, s[96:99], 0 offset:32 ; 4-byte Folded Spill
	buffer_load_dword v3, off, s[96:99], 0 offset:28 ; 4-byte Folded Reload
	buffer_store_dword v4, off, s[96:99], 0 ; 4-byte Folded Spill
	s_mov_b32 s8, 0xbbbac73d
	buffer_load_dword v31, off, s[96:99], 0 offset:212 ; 4-byte Folded Reload
	s_waitcnt vmcnt(1)
	v_add_co_ci_u32_e64 v3, null, s53, v3, vcc_lo
	v_add_co_u32 v131, vcc_lo, v0, 2
	v_add_co_ci_u32_e64 v134, null, 0, v1, vcc_lo
	buffer_store_dword v3, off, s[96:99], 0 offset:28 ; 4-byte Folded Spill
	buffer_load_dword v3, off, s[96:99], 0 offset:200 ; 4-byte Folded Reload
	v_add_co_u32 v0, vcc_lo, s52, v135
	v_add_co_ci_u32_e64 v1, null, s53, v137, vcc_lo
	v_add_co_u32 v225, vcc_lo, s52, v166
	v_add_co_ci_u32_e64 v166, null, s53, v170, vcc_lo
	;; [unrolled: 2-line block ×28, first 2 shown]
	v_mov_b32_e32 v0, v36
	s_waitcnt vmcnt(0)
	v_add_co_u32 v190, vcc_lo, s52, v3
	buffer_load_dword v3, off, s[96:99], 0 offset:204 ; 4-byte Folded Reload
	v_add_co_ci_u32_e64 v171, null, s53, v171, vcc_lo
	v_add_co_u32 v188, vcc_lo, v34, 2
	v_add_co_ci_u32_e64 v173, null, 0, v1, vcc_lo
	v_add_co_u32 v34, vcc_lo, s52, v186
	;; [unrolled: 2-line block ×17, first 2 shown]
	v_mov_b32_e32 v1, v35
	v_add_co_ci_u32_e64 v35, null, s53, v214, vcc_lo
	v_add_co_u32 v205, vcc_lo, s52, v205
	v_add_co_ci_u32_e64 v209, null, s53, v209, vcc_lo
	v_add_co_u32 v213, vcc_lo, v34, 2
	;; [unrolled: 2-line block ×12, first 2 shown]
	v_add_co_ci_u32_e64 v36, null, s53, v39, vcc_lo
	s_waitcnt vmcnt(0)
	v_add_co_u32 v39, vcc_lo, s52, v3
	buffer_load_dword v3, off, s[96:99], 0 offset:196 ; 4-byte Folded Reload
	v_add_co_ci_u32_e64 v40, null, s53, v231, vcc_lo
	v_add_co_u32 v181, vcc_lo, v34, 2
	v_add_co_ci_u32_e64 v36, null, 0, v36, vcc_lo
	v_add_co_u32 v34, vcc_lo, s52, v179
	;; [unrolled: 2-line block ×4, first 2 shown]
	v_add_co_ci_u32_e64 v74, null, 0, v35, vcc_lo
	buffer_load_dword v42, off, s[96:99], 0 offset:68 ; 4-byte Folded Reload
	s_waitcnt vmcnt(1)
	v_add_co_u32 v34, vcc_lo, s52, v3
	buffer_load_dword v3, off, s[96:99], 0 offset:180 ; 4-byte Folded Reload
	v_add_co_ci_u32_e64 v35, null, s53, v43, vcc_lo
	v_add_co_u32 v75, vcc_lo, s52, v51
	v_add_co_ci_u32_e64 v222, null, s53, v44, vcc_lo
	v_add_co_u32 v44, vcc_lo, v34, 2
	v_add_co_ci_u32_e64 v51, null, 0, v35, vcc_lo
	s_waitcnt vmcnt(0)
	v_add_co_u32 v34, vcc_lo, s52, v3
	buffer_load_dword v3, off, s[96:99], 0 offset:172 ; 4-byte Folded Reload
	v_add_co_ci_u32_e64 v35, null, s53, v45, vcc_lo
	s_waitcnt vmcnt(0)
	v_add_co_u32 v45, vcc_lo, s52, v3
	buffer_load_dword v3, off, s[96:99], 0 offset:176 ; 4-byte Folded Reload
	v_add_co_ci_u32_e64 v46, null, s53, v46, vcc_lo
	v_add_co_u32 v231, vcc_lo, v34, 2
	v_add_co_ci_u32_e64 v142, null, 0, v35, vcc_lo
	s_waitcnt vmcnt(0)
	v_add_co_u32 v34, vcc_lo, s52, v3
	buffer_load_dword v3, off, s[96:99], 0 offset:156 ; 4-byte Folded Reload
	v_add_co_ci_u32_e64 v35, null, s53, v47, vcc_lo
	s_waitcnt vmcnt(0)
	v_add_co_u32 v47, vcc_lo, s52, v3
	buffer_load_dword v3, off, s[96:99], 0 offset:160 ; 4-byte Folded Reload
	;; [unrolled: 10-line block ×7, first 2 shown]
	v_add_co_ci_u32_e64 v154, null, s53, v119, vcc_lo
	v_add_co_u32 v155, vcc_lo, v34, 2
	v_add_co_ci_u32_e64 v159, null, 0, v35, vcc_lo
	v_mov_b32_e32 v119, v82
	s_waitcnt vmcnt(0)
	v_add_co_u32 v34, vcc_lo, s52, v3
	buffer_load_dword v3, off, s[96:99], 0 offset:112 ; 4-byte Folded Reload
	v_add_co_ci_u32_e64 v35, null, s53, v120, vcc_lo
	v_add_co_u32 v160, vcc_lo, s52, v168
	v_add_co_ci_u32_e64 v167, null, s53, v121, vcc_lo
	v_add_co_u32 v163, vcc_lo, v34, 2
	v_add_co_ci_u32_e64 v168, null, 0, v35, vcc_lo
	s_waitcnt vmcnt(0)
	v_add_co_u32 v34, vcc_lo, s52, v3
	v_add_co_ci_u32_e64 v35, null, s53, v2, vcc_lo
	s_clause 0x1
	buffer_load_dword v2, off, s[96:99], 0 offset:104
	buffer_load_dword v3, off, s[96:99], 0 offset:108
	s_waitcnt vmcnt(1)
	v_add_co_u32 v229, vcc_lo, s52, v2
	buffer_load_dword v2, off, s[96:99], 0 offset:584 ; 4-byte Folded Reload
	s_waitcnt vmcnt(0)
	v_add_co_ci_u32_e64 v164, null, s53, v2, vcc_lo
	v_add_co_u32 v82, vcc_lo, v34, 2
	v_add_co_ci_u32_e64 v2, null, 0, v35, vcc_lo
	v_add_co_u32 v34, vcc_lo, s52, v3
	buffer_load_dword v3, off, s[96:99], 0 offset:580 ; 4-byte Folded Reload
	s_waitcnt vmcnt(0)
	v_add_co_ci_u32_e64 v35, null, s53, v3, vcc_lo
	buffer_load_dword v3, off, s[96:99], 0 offset:96 ; 4-byte Folded Reload
	s_waitcnt vmcnt(0)
	v_add_co_u32 v4, vcc_lo, s52, v3
	buffer_load_dword v3, off, s[96:99], 0 offset:576 ; 4-byte Folded Reload
	s_waitcnt vmcnt(0)
	v_add_co_ci_u32_e64 v5, null, s53, v3, vcc_lo
	v_add_co_u32 v6, vcc_lo, v34, 2
	v_add_co_ci_u32_e64 v3, null, 0, v35, vcc_lo
	v_add_co_u32 v34, vcc_lo, s52, v7
	buffer_load_dword v7, off, s[96:99], 0 offset:572 ; 4-byte Folded Reload
	s_waitcnt vmcnt(0)
	v_add_co_ci_u32_e64 v35, null, s53, v7, vcc_lo
	buffer_load_dword v7, off, s[96:99], 0 offset:88 ; 4-byte Folded Reload
	;; [unrolled: 12-line block ×7, first 2 shown]
	v_add_co_u32 v28, vcc_lo, s52, v162
	s_waitcnt vmcnt(0)
	v_add_co_ci_u32_e64 v29, null, s53, v27, vcc_lo
	v_add_co_u32 v30, vcc_lo, v34, 2
	v_add_co_ci_u32_e64 v27, null, 0, v35, vcc_lo
	v_add_co_u32 v34, vcc_lo, s52, v175
	v_add_co_ci_u32_e64 v35, null, s53, v31, vcc_lo
	buffer_load_dword v31, off, s[96:99], 0 offset:208 ; 4-byte Folded Reload
	v_add_co_u32 v32, vcc_lo, s52, v158
	s_waitcnt vmcnt(0)
	v_add_co_ci_u32_e64 v33, null, s53, v31, vcc_lo
	v_add_co_u32 v120, vcc_lo, v34, 2
	buffer_load_dword v34, off, s[96:99], 0 offset:80 ; 4-byte Folded Reload
	v_add_co_ci_u32_e64 v31, null, 0, v35, vcc_lo
	buffer_load_dword v35, off, s[96:99], 0 offset:216 ; 4-byte Folded Reload
	s_waitcnt vmcnt(1)
	v_add_co_u32 v34, vcc_lo, s52, v34
	s_waitcnt vmcnt(0)
	v_add_co_ci_u32_e64 v35, null, s53, v35, vcc_lo
	v_add_co_u32 v207, vcc_lo, s52, v111
	v_add_co_ci_u32_e64 v121, null, s53, v255, vcc_lo
	v_add_co_u32 v255, vcc_lo, v34, 2
	buffer_load_dword v34, off, s[96:99], 0 offset:84 ; 4-byte Folded Reload
	v_add_co_ci_u32_e64 v111, null, 0, v35, vcc_lo
	buffer_load_dword v35, off, s[96:99], 0 offset:188 ; 4-byte Folded Reload
	s_waitcnt vmcnt(1)
	v_add_co_u32 v34, vcc_lo, s52, v34
	s_waitcnt vmcnt(0)
	v_add_co_ci_u32_e64 v35, null, s53, v35, vcc_lo
	v_add_co_u32 v158, vcc_lo, s52, v42
	buffer_load_dword v42, off, s[96:99], 0 offset:192 ; 4-byte Folded Reload
	s_waitcnt vmcnt(0)
	v_add_co_ci_u32_e64 v162, null, s53, v42, vcc_lo
	v_add_co_u32 v175, vcc_lo, v34, 2
	s_clause 0x1
	buffer_load_dword v34, off, s[96:99], 0 offset:48
	buffer_load_dword v42, off, s[96:99], 0 offset:164
	v_add_co_ci_u32_e64 v54, null, 0, v35, vcc_lo
	buffer_load_dword v35, off, s[96:99], 0 offset:184 ; 4-byte Folded Reload
	s_waitcnt vmcnt(2)
	v_add_co_u32 v34, vcc_lo, s52, v34
	s_waitcnt vmcnt(0)
	v_add_co_ci_u32_e64 v35, null, s53, v35, vcc_lo
	v_add_co_u32 v60, vcc_lo, s52, v178
	v_add_co_ci_u32_e64 v62, null, s53, v42, vcc_lo
	v_add_co_u32 v64, vcc_lo, v34, 2
	buffer_load_dword v34, off, s[96:99], 0 offset:36 ; 4-byte Folded Reload
	v_add_co_ci_u32_e64 v70, null, 0, v35, vcc_lo
	s_waitcnt vmcnt(0)
	v_add_co_u32 v72, vcc_lo, s52, v34
	buffer_load_dword v34, off, s[96:99], 0 offset:168 ; 4-byte Folded Reload
	s_waitcnt vmcnt(0)
	v_add_co_ci_u32_e64 v178, null, s53, v34, vcc_lo
	buffer_load_dword v34, off, s[96:99], 0 offset:1276 ; 4-byte Folded Reload
	s_waitcnt vmcnt(0)
	v_and_b32_e32 v34, 4, v34
	buffer_store_dword v34, off, s[96:99], 0 offset:1272 ; 4-byte Folded Spill
	v_mov_b32_e32 v34, s82
	v_mov_b32_e32 v35, s83
	buffer_store_dword v34, off, s[96:99], 0 offset:504 ; 4-byte Folded Spill
	buffer_store_dword v35, off, s[96:99], 0 offset:508 ; 4-byte Folded Spill
	v_mov_b32_e32 v34, s80
	v_mov_b32_e32 v35, s81
	buffer_store_dword v34, off, s[96:99], 0 offset:512 ; 4-byte Folded Spill
	buffer_store_dword v35, off, s[96:99], 0 offset:516 ; 4-byte Folded Spill
	s_branch .LBB31_22
.LBB31_21:                              ;   in Loop: Header=BB31_22 Depth=1
	s_clause 0x3e
	buffer_load_dword v120, off, s[96:99], 0 offset:620
	buffer_load_dword v218, off, s[96:99], 0 offset:624
	;; [unrolled: 1-line block ×63, first 2 shown]
	s_clause 0x2c
	buffer_load_dword v24, off, s[96:99], 0 offset:148
	buffer_load_dword v12, off, s[96:99], 0 offset:760
	;; [unrolled: 1-line block ×45, first 2 shown]
	v_add_f32_e32 v38, 0x40051340, v36
	v_add_f32_e32 v39, 0x40051340, v42
	v_mov_b32_e32 v208, 0x10001
	v_add_f32_e32 v48, 0x40051340, v43
	s_waitcnt vmcnt(62)
	v_mov_b32_e32 v13, v169
	v_mov_b32_e32 v193, v245
	s_add_i32 s58, s58, s76
	s_cmp_ge_i32 s58, s73
	s_waitcnt vmcnt(5)
	v_max3_f32 v38, v34, v38, v39
	s_waitcnt vmcnt(3)
	ds_bpermute_b32 v39, v0, v38
	s_waitcnt lgkmcnt(0)
	v_max_f32_e32 v39, v39, v39
	v_max_f32_e32 v38, v38, v39
	s_waitcnt vmcnt(2)
	ds_bpermute_b32 v39, v1, v38
	s_waitcnt lgkmcnt(0)
	v_max_f32_e32 v39, v39, v39
	v_max_f32_e32 v38, v38, v39
	;; [unrolled: 5-line block ×4, first 2 shown]
	v_sub_f32_e32 v34, v34, v51
	v_mul_f32_e32 v38, 0x3fb8aa3b, v34
	v_cmp_ngt_f32_e32 vcc_lo, 0xc2ce8ed0, v34
	v_fma_f32 v39, 0x3fb8aa3b, v34, -v38
	v_rndne_f32_e32 v40, v38
	v_fmac_f32_e32 v39, 0x32a5705f, v34
	v_sub_f32_e32 v38, v38, v40
	v_add_f32_e32 v38, v38, v39
	v_cvt_i32_f32_e32 v39, v40
	v_exp_f32_e32 v38, v38
	v_ldexp_f32 v38, v38, v39
	v_cndmask_b32_e32 v38, 0, v38, vcc_lo
	v_cmp_nlt_f32_e32 vcc_lo, 0x42b17218, v34
	v_cndmask_b32_e32 v34, 0x7f800000, v38, vcc_lo
	buffer_store_dword v34, off, s[96:99], 0 offset:1064 ; 4-byte Folded Spill
	ds_read_b128 v[38:41], v127
	ds_read_b128 v[44:47], v127 offset:16
	v_cvt_f16_f32_e32 v34, v34
	v_mul_u32_u24_sdwa v34, v34, v208 dst_sel:DWORD dst_unused:UNUSED_PAD src0_sel:WORD_0 src1_sel:DWORD
	s_waitcnt lgkmcnt(1)
	v_pk_mul_f16 v38, v38, v34
	v_pk_mul_f16 v39, v39, v34
	;; [unrolled: 1-line block ×4, first 2 shown]
	v_add_f32_e32 v34, 0x40051340, v37
	v_max3_f32 v34, v35, v34, v48
	ds_bpermute_b32 v48, v0, v34
	s_waitcnt lgkmcnt(0)
	v_max_f32_e32 v48, v48, v48
	v_max_f32_e32 v34, v34, v48
	ds_bpermute_b32 v48, v1, v34
	s_waitcnt lgkmcnt(0)
	v_max_f32_e32 v48, v48, v48
	v_max_f32_e32 v34, v34, v48
	;; [unrolled: 4-line block ×4, first 2 shown]
	v_sub_f32_e32 v34, v35, v52
	v_mov_b32_e32 v56, v52
	v_mov_b32_e32 v55, v51
	v_mul_f32_e32 v35, 0x3fb8aa3b, v34
	v_cmp_ngt_f32_e32 vcc_lo, 0xc2ce8ed0, v34
	v_fma_f32 v48, 0x3fb8aa3b, v34, -v35
	v_rndne_f32_e32 v49, v35
	v_fmac_f32_e32 v48, 0x32a5705f, v34
	v_sub_f32_e32 v35, v35, v49
	v_add_f32_e32 v35, v35, v48
	v_cvt_i32_f32_e32 v48, v49
	v_exp_f32_e32 v35, v35
	v_ldexp_f32 v35, v35, v48
	v_cndmask_b32_e32 v35, 0, v35, vcc_lo
	v_cmp_nlt_f32_e32 vcc_lo, 0x42b17218, v34
	v_cndmask_b32_e32 v0, 0x7f800000, v35, vcc_lo
	v_cvt_f16_f32_e32 v34, v0
	buffer_store_dword v0, off, s[96:99], 0 offset:512 ; 4-byte Folded Spill
	v_mul_u32_u24_sdwa v34, v34, v208 dst_sel:DWORD dst_unused:UNUSED_PAD src0_sel:WORD_0 src1_sel:DWORD
	v_pk_mul_f16 v52, v44, v34
	v_pk_mul_f16 v53, v45, v34
	;; [unrolled: 1-line block ×4, first 2 shown]
	v_add_co_u32 v34, vcc_lo, v135, s2
	v_add_co_ci_u32_e64 v35, null, 0, v3, vcc_lo
	global_load_dword v44, v[34:35], off
	v_add_co_u32 v34, vcc_lo, v111, s2
	v_add_co_ci_u32_e64 v35, null, 0, v158, vcc_lo
	global_load_ushort v34, v[34:35], off
	buffer_store_dword v55, off, s[96:99], 0 offset:1104 ; 4-byte Folded Spill
	buffer_store_dword v56, off, s[96:99], 0 offset:1108 ; 4-byte Folded Spill
	v_cndmask_b32_e64 v35, v42, v36, s1
	v_cndmask_b32_e64 v36, v43, v37, s1
	ds_write_b128 v127, v[38:41]
	buffer_load_dword v1, off, s[96:99], 0 offset:1272 ; 4-byte Folded Reload
	v_sub_f32_e32 v35, v35, v55
	v_sub_f32_e32 v36, v36, v56
	s_waitcnt vmcnt(1)
	v_mul_u32_u24_e32 v34, 0x10001, v34
	v_mov_b32_e32 v55, v59
	v_mov_b32_e32 v59, v58
	v_mul_f32_e32 v37, 0x3fb8aa3b, v35
	v_cmp_ngt_f32_e32 vcc_lo, 0xc2ce8ed0, v35
	v_mov_b32_e32 v58, v193
	v_fma_f32 v42, 0x3fb8aa3b, v35, -v37
	v_rndne_f32_e32 v43, v37
	v_fmac_f32_e32 v42, 0x32a5705f, v35
	v_sub_f32_e32 v37, v37, v43
	v_cvt_i32_f32_e32 v43, v43
	v_add_f32_e32 v37, v37, v42
	v_mul_f32_e32 v42, 0x3fb8aa3b, v36
	v_exp_f32_e32 v37, v37
	v_fma_f32 v45, 0x3fb8aa3b, v36, -v42
	v_rndne_f32_e32 v46, v42
	v_fmac_f32_e32 v45, 0x32a5705f, v36
	v_sub_f32_e32 v42, v42, v46
	v_ldexp_f32 v37, v37, v43
	v_cvt_i32_f32_e32 v43, v46
	v_add_f32_e32 v42, v42, v45
	v_cndmask_b32_e32 v37, 0, v37, vcc_lo
	v_cmp_nlt_f32_e32 vcc_lo, 0x42b17218, v35
	v_exp_f32_e32 v42, v42
	v_cndmask_b32_e32 v0, 0x7f800000, v37, vcc_lo
	buffer_load_dword v37, off, s[96:99], 0 offset:1116 ; 4-byte Folded Reload
	v_cmp_ngt_f32_e32 vcc_lo, 0xc2ce8ed0, v36
	v_cvt_f16_f32_e32 v35, v0
	v_ldexp_f32 v42, v42, v43
	buffer_store_dword v0, off, s[96:99], 0 offset:1068 ; 4-byte Folded Spill
	s_waitcnt vmcnt(0)
	ds_write_b16 v37, v35
	v_cndmask_b32_e32 v35, 0, v42, vcc_lo
	v_cmp_nlt_f32_e32 vcc_lo, 0x42b17218, v36
	v_cndmask_b32_e32 v0, 0x7f800000, v35, vcc_lo
	buffer_store_dword v0, off, s[96:99], 0 offset:1072 ; 4-byte Folded Spill
	v_cvt_f16_f32_e32 v35, v0
	buffer_load_dword v0, off, s[96:99], 0 offset:1136 ; 4-byte Folded Reload
	ds_write_b16 v37, v35 offset:256
	v_ashrrev_i32_e32 v35, v1, v44
	v_and_b32_e32 v35, 0xf0f0f0f, v35
	v_lshlrev_b16 v36, 8, v35
	v_and_b32_e32 v37, 0xf00, v35
	v_lshrrev_b32_e32 v35, 16, v35
	v_add_nc_u16 v36, 0xf800, v36
	v_or_b32_sdwa v36, v37, v36 dst_sel:DWORD dst_unused:UNUSED_PAD src0_sel:DWORD src1_sel:BYTE_1
	v_lshlrev_b16 v37, 8, v35
	v_and_b32_e32 v35, 0xf00, v35
	v_add_nc_u16 v36, 0xf800, v36
	v_add_nc_u16 v37, 0xf800, v37
	v_or_b32_sdwa v35, v35, v37 dst_sel:DWORD dst_unused:UNUSED_PAD src0_sel:DWORD src1_sel:BYTE_1
	v_lshrrev_b32_e32 v37, 8, v36
	v_cvt_f16_i16_sdwa v36, sext(v36) dst_sel:DWORD dst_unused:UNUSED_PAD src0_sel:BYTE_0
	v_add_nc_u16 v35, 0xf800, v35
	v_cvt_f16_i16_sdwa v37, sext(v37) dst_sel:DWORD dst_unused:UNUSED_PAD src0_sel:BYTE_0
	v_pack_b32_f16 v36, v36, v37
	v_lshrrev_b32_e32 v37, 8, v35
	v_cvt_f16_i16_sdwa v35, sext(v35) dst_sel:DWORD dst_unused:UNUSED_PAD src0_sel:BYTE_0
	v_pk_mul_f16 v209, v36, v34
	v_cvt_f16_i16_sdwa v37, sext(v37) dst_sel:DWORD dst_unused:UNUSED_PAD src0_sel:BYTE_0
	v_pack_b32_f16 v35, v35, v37
	v_pk_mul_f16 v210, v35, v34
	s_waitcnt vmcnt(0)
	ds_read_b128 v[34:37], v0
	ds_read_b128 v[42:45], v0 offset:16
	s_waitcnt lgkmcnt(1)
	v_mul_u32_u24_sdwa v122, v34, v208 dst_sel:DWORD dst_unused:UNUSED_PAD src0_sel:WORD_0 src1_sel:DWORD
	v_mul_u32_u24_sdwa v34, v34, v208 dst_sel:DWORD dst_unused:UNUSED_PAD src0_sel:WORD_1 src1_sel:DWORD
	v_pk_fma_f16 v123, v209, v122, v38
	v_pk_fma_f16 v124, v210, v122, v39
	ds_read_b128 v[46:49], v0 offset:256
	ds_read_b128 v[38:41], v0 offset:272
	buffer_store_dword v63, off, s[96:99], 0 offset:1092 ; 4-byte Folded Spill
	buffer_store_dword v71, off, s[96:99], 0 offset:1112 ; 4-byte Folded Spill
	;; [unrolled: 1-line block ×3, first 2 shown]
	s_waitcnt lgkmcnt(1)
	v_mul_u32_u24_sdwa v128, v46, v208 dst_sel:DWORD dst_unused:UNUSED_PAD src0_sel:WORD_0 src1_sel:DWORD
	v_mul_u32_u24_sdwa v46, v46, v208 dst_sel:DWORD dst_unused:UNUSED_PAD src0_sel:WORD_1 src1_sel:DWORD
	v_pk_fma_f16 v209, v209, v128, v52
	v_add_co_u32 v52, vcc_lo, v172, s2
	v_pk_fma_f16 v210, v210, v128, v53
	v_add_co_ci_u32_e64 v53, null, 0, v55, vcc_lo
	global_load_dword v211, v[52:53], off
	v_add_co_u32 v52, vcc_lo, v182, s2
	v_add_co_ci_u32_e64 v53, null, 0, v189, vcc_lo
	global_load_ushort v52, v[52:53], off
	s_waitcnt vmcnt(1)
	v_ashrrev_i32_e32 v53, v1, v211
	v_and_b32_e32 v53, 0xf0f0f0f, v53
	s_waitcnt vmcnt(0)
	v_mul_u32_u24_e32 v52, 0x10001, v52
	v_lshlrev_b16 v211, 8, v53
	v_and_b32_e32 v212, 0xf00, v53
	v_lshrrev_b32_e32 v53, 16, v53
	v_add_nc_u16 v211, 0xf800, v211
	v_or_b32_sdwa v211, v212, v211 dst_sel:DWORD dst_unused:UNUSED_PAD src0_sel:DWORD src1_sel:BYTE_1
	v_lshlrev_b16 v212, 8, v53
	v_and_b32_e32 v53, 0xf00, v53
	v_add_nc_u16 v211, 0xf800, v211
	v_add_nc_u16 v212, 0xf800, v212
	v_or_b32_sdwa v53, v53, v212 dst_sel:DWORD dst_unused:UNUSED_PAD src0_sel:DWORD src1_sel:BYTE_1
	v_lshrrev_b32_e32 v212, 8, v211
	v_cvt_f16_i16_sdwa v211, sext(v211) dst_sel:DWORD dst_unused:UNUSED_PAD src0_sel:BYTE_0
	v_add_nc_u16 v53, 0xf800, v53
	v_cvt_f16_i16_sdwa v212, sext(v212) dst_sel:DWORD dst_unused:UNUSED_PAD src0_sel:BYTE_0
	v_pack_b32_f16 v211, v211, v212
	v_lshrrev_b32_e32 v212, 8, v53
	v_cvt_f16_i16_sdwa v53, sext(v53) dst_sel:DWORD dst_unused:UNUSED_PAD src0_sel:BYTE_0
	v_pk_mul_f16 v213, v211, v52
	v_cvt_f16_i16_sdwa v212, sext(v212) dst_sel:DWORD dst_unused:UNUSED_PAD src0_sel:BYTE_0
	v_pk_fma_f16 v211, v213, v128, v50
	v_pack_b32_f16 v53, v53, v212
	v_add_co_u32 v50, vcc_lo, v245, s2
	v_pk_mul_f16 v214, v53, v52
	v_pk_fma_f16 v212, v214, v128, v51
	v_add_co_ci_u32_e64 v51, null, 0, v61, vcc_lo
	ds_write_b128 v127, v[209:212] offset:16
	global_load_dword v52, v[50:51], off
	v_add_co_u32 v50, vcc_lo, v63, s2
	v_mov_b32_e32 v63, v67
	v_add_co_ci_u32_e64 v51, null, 0, v63, vcc_lo
	global_load_dword v53, v[50:51], off
	v_add_co_u32 v50, vcc_lo, v59, s2
	v_add_co_ci_u32_e64 v51, null, 0, v244, vcc_lo
	global_load_ushort v128, v[50:51], off
	v_add_co_u32 v50, vcc_lo, v174, s2
	v_add_co_ci_u32_e64 v51, null, 0, v162, vcc_lo
	global_load_ushort v50, v[50:51], off
	s_waitcnt vmcnt(3)
	v_ashrrev_i32_e32 v51, v1, v52
	v_and_b32_e32 v51, 0xf0f0f0f, v51
	v_lshlrev_b16 v52, 8, v51
	v_and_b32_e32 v215, 0xf00, v51
	v_lshrrev_b32_e32 v51, 16, v51
	s_waitcnt vmcnt(2)
	v_ashrrev_i32_e32 v53, v1, v53
	v_add_nc_u16 v52, 0xf800, v52
	v_and_b32_e32 v53, 0xf0f0f0f, v53
	v_or_b32_sdwa v52, v215, v52 dst_sel:DWORD dst_unused:UNUSED_PAD src0_sel:DWORD src1_sel:BYTE_1
	s_waitcnt vmcnt(1)
	v_mul_u32_u24_e32 v128, 0x10001, v128
	v_lshlrev_b16 v215, 8, v53
	v_and_b32_e32 v216, 0xf00, v53
	v_lshrrev_b32_e32 v53, 16, v53
	v_add_nc_u16 v52, 0xf800, v52
	v_add_nc_u16 v215, 0xf800, v215
	s_waitcnt vmcnt(0)
	v_mul_u32_u24_e32 v50, 0x10001, v50
	v_or_b32_sdwa v215, v216, v215 dst_sel:DWORD dst_unused:UNUSED_PAD src0_sel:DWORD src1_sel:BYTE_1
	v_lshlrev_b16 v216, 8, v51
	v_and_b32_e32 v51, 0xf00, v51
	v_add_nc_u16 v215, 0xf800, v215
	v_add_nc_u16 v216, 0xf800, v216
	v_or_b32_sdwa v51, v51, v216 dst_sel:DWORD dst_unused:UNUSED_PAD src0_sel:DWORD src1_sel:BYTE_1
	v_lshlrev_b16 v216, 8, v53
	v_and_b32_e32 v53, 0xf00, v53
	v_add_nc_u16 v51, 0xf800, v51
	v_add_nc_u16 v216, 0xf800, v216
	v_or_b32_sdwa v53, v53, v216 dst_sel:DWORD dst_unused:UNUSED_PAD src0_sel:DWORD src1_sel:BYTE_1
	v_lshrrev_b32_e32 v216, 8, v52
	v_cvt_f16_i16_sdwa v52, sext(v52) dst_sel:DWORD dst_unused:UNUSED_PAD src0_sel:BYTE_0
	v_add_nc_u16 v53, 0xf800, v53
	v_cvt_f16_i16_sdwa v216, sext(v216) dst_sel:DWORD dst_unused:UNUSED_PAD src0_sel:BYTE_0
	v_pack_b32_f16 v52, v52, v216
	v_lshrrev_b32_e32 v216, 8, v215
	v_cvt_f16_i16_sdwa v215, sext(v215) dst_sel:DWORD dst_unused:UNUSED_PAD src0_sel:BYTE_0
	v_cvt_f16_i16_sdwa v216, sext(v216) dst_sel:DWORD dst_unused:UNUSED_PAD src0_sel:BYTE_0
	v_pack_b32_f16 v215, v215, v216
	v_lshrrev_b32_e32 v216, 8, v51
	v_cvt_f16_i16_sdwa v51, sext(v51) dst_sel:DWORD dst_unused:UNUSED_PAD src0_sel:BYTE_0
	v_pk_mul_f16 v215, v215, v50
	v_cvt_f16_i16_sdwa v216, sext(v216) dst_sel:DWORD dst_unused:UNUSED_PAD src0_sel:BYTE_0
	v_pack_b32_f16 v51, v51, v216
	v_lshrrev_b32_e32 v216, 8, v53
	v_cvt_f16_i16_sdwa v53, sext(v53) dst_sel:DWORD dst_unused:UNUSED_PAD src0_sel:BYTE_0
	v_cvt_f16_i16_sdwa v216, sext(v216) dst_sel:DWORD dst_unused:UNUSED_PAD src0_sel:BYTE_0
	v_pack_b32_f16 v53, v53, v216
	v_pk_mul_f16 v216, v52, v128
	v_pk_mul_f16 v128, v51, v128
	v_pk_fma_f16 v52, v215, v46, v211
	v_pk_mul_f16 v217, v53, v50
	v_pk_fma_f16 v50, v216, v46, v209
	v_pk_fma_f16 v51, v128, v46, v210
	ds_read_b64 v[209:210], v127 offset:8
	v_pk_fma_f16 v53, v217, v46, v212
	ds_write_b128 v127, v[50:53] offset:16
	s_waitcnt lgkmcnt(1)
	v_pk_fma_f16 v46, v213, v122, v209
	v_add_co_u32 v213, vcc_lo, v68, s2
	v_pk_fma_f16 v122, v214, v122, v210
	v_add_co_ci_u32_e64 v214, null, 0, v71, vcc_lo
	v_pk_fma_f16 v209, v216, v34, v123
	v_pk_fma_f16 v211, v215, v34, v46
	;; [unrolled: 1-line block ×4, first 2 shown]
	global_load_dword v34, v[213:214], off
	v_add_co_u32 v213, vcc_lo, v64, s2
	v_add_co_ci_u32_e64 v214, null, 0, v70, vcc_lo
	v_mov_b32_e32 v71, v175
	v_mov_b32_e32 v175, v156
	ds_write_b128 v127, v[209:212]
	global_load_dword v46, v[213:214], off
	v_mov_b32_e32 v217, v161
	v_add_co_u32 v213, vcc_lo, v71, s2
	v_add_co_ci_u32_e64 v214, null, 0, v65, vcc_lo
	v_mov_b32_e32 v156, v115
	global_load_ushort v122, v[213:214], off
	v_add_co_u32 v213, vcc_lo, v72, s2
	v_add_co_ci_u32_e64 v214, null, 0, v178, vcc_lo
	global_load_ushort v123, v[213:214], off
	s_waitcnt vmcnt(3)
	v_ashrrev_i32_e32 v34, v1, v34
	v_and_b32_e32 v34, 0xf0f0f0f, v34
	s_waitcnt vmcnt(2)
	v_ashrrev_i32_e32 v46, v1, v46
	v_lshlrev_b16 v124, 8, v34
	v_and_b32_e32 v128, 0xf00, v34
	v_lshrrev_b32_e32 v34, 16, v34
	v_and_b32_e32 v46, 0xf0f0f0f, v46
	v_add_nc_u16 v124, 0xf800, v124
	s_waitcnt vmcnt(1)
	v_mul_u32_u24_e32 v122, 0x10001, v122
	v_and_b32_e32 v213, 0xf00, v46
	v_or_b32_sdwa v124, v128, v124 dst_sel:DWORD dst_unused:UNUSED_PAD src0_sel:DWORD src1_sel:BYTE_1
	v_lshlrev_b16 v128, 8, v46
	v_lshrrev_b32_e32 v46, 16, v46
	v_add_nc_u16 v124, 0xf800, v124
	v_add_nc_u16 v128, 0xf800, v128
	v_or_b32_sdwa v128, v213, v128 dst_sel:DWORD dst_unused:UNUSED_PAD src0_sel:DWORD src1_sel:BYTE_1
	v_lshlrev_b16 v213, 8, v34
	v_and_b32_e32 v34, 0xf00, v34
	v_add_nc_u16 v128, 0xf800, v128
	v_add_nc_u16 v213, 0xf800, v213
	v_or_b32_sdwa v34, v34, v213 dst_sel:DWORD dst_unused:UNUSED_PAD src0_sel:DWORD src1_sel:BYTE_1
	v_lshlrev_b16 v213, 8, v46
	v_and_b32_e32 v46, 0xf00, v46
	v_add_nc_u16 v34, 0xf800, v34
	v_add_nc_u16 v213, 0xf800, v213
	v_or_b32_sdwa v46, v46, v213 dst_sel:DWORD dst_unused:UNUSED_PAD src0_sel:DWORD src1_sel:BYTE_1
	v_lshrrev_b32_e32 v213, 8, v124
	v_cvt_f16_i16_sdwa v124, sext(v124) dst_sel:DWORD dst_unused:UNUSED_PAD src0_sel:BYTE_0
	v_add_nc_u16 v46, 0xf800, v46
	v_cvt_f16_i16_sdwa v213, sext(v213) dst_sel:DWORD dst_unused:UNUSED_PAD src0_sel:BYTE_0
	v_pack_b32_f16 v124, v124, v213
	v_lshrrev_b32_e32 v213, 8, v128
	v_cvt_f16_i16_sdwa v128, sext(v128) dst_sel:DWORD dst_unused:UNUSED_PAD src0_sel:BYTE_0
	v_pk_mul_f16 v124, v124, v122
	v_cvt_f16_i16_sdwa v213, sext(v213) dst_sel:DWORD dst_unused:UNUSED_PAD src0_sel:BYTE_0
	v_pack_b32_f16 v128, v128, v213
	v_lshrrev_b32_e32 v213, 8, v34
	v_cvt_f16_i16_sdwa v34, sext(v34) dst_sel:DWORD dst_unused:UNUSED_PAD src0_sel:BYTE_0
	v_cvt_f16_i16_sdwa v213, sext(v213) dst_sel:DWORD dst_unused:UNUSED_PAD src0_sel:BYTE_0
	v_pack_b32_f16 v34, v34, v213
	v_lshrrev_b32_e32 v213, 8, v46
	v_cvt_f16_i16_sdwa v46, sext(v46) dst_sel:DWORD dst_unused:UNUSED_PAD src0_sel:BYTE_0
	v_pk_mul_f16 v34, v34, v122
	v_cvt_f16_i16_sdwa v213, sext(v213) dst_sel:DWORD dst_unused:UNUSED_PAD src0_sel:BYTE_0
	s_waitcnt vmcnt(0)
	v_mul_u32_u24_e32 v122, 0x10001, v123
	v_pack_b32_f16 v46, v46, v213
	v_pk_mul_f16 v123, v128, v122
	v_pk_mul_f16 v46, v46, v122
	v_mul_u32_u24_sdwa v122, v35, v208 dst_sel:DWORD dst_unused:UNUSED_PAD src0_sel:WORD_0 src1_sel:DWORD
	v_mul_u32_u24_sdwa v35, v35, v208 dst_sel:DWORD dst_unused:UNUSED_PAD src0_sel:WORD_1 src1_sel:DWORD
	v_pk_fma_f16 v213, v124, v122, v209
	v_pk_fma_f16 v215, v123, v122, v211
	;; [unrolled: 1-line block ×4, first 2 shown]
	v_mul_u32_u24_sdwa v122, v47, v208 dst_sel:DWORD dst_unused:UNUSED_PAD src0_sel:WORD_0 src1_sel:DWORD
	v_pk_fma_f16 v209, v124, v122, v50
	v_add_co_u32 v50, vcc_lo, v175, s2
	v_pk_fma_f16 v210, v34, v122, v51
	v_add_co_ci_u32_e64 v51, null, 0, v54, vcc_lo
	v_pk_fma_f16 v212, v46, v122, v53
	v_pk_fma_f16 v211, v123, v122, v52
	global_load_dword v34, v[50:51], off
	v_add_co_u32 v50, vcc_lo, v60, s2
	v_add_co_ci_u32_e64 v51, null, 0, v62, vcc_lo
	global_load_ushort v46, v[50:51], off
	v_add_co_u32 v50, vcc_lo, v94, s2
	v_add_co_ci_u32_e64 v51, null, 0, v85, vcc_lo
	global_load_dword v52, v[50:51], off
	buffer_store_dword v244, off, s[96:99], 0 offset:1100 ; 4-byte Folded Spill
	buffer_store_dword v162, off, s[96:99], 0 offset:1084 ; 4-byte Folded Spill
	v_mov_b32_e32 v162, v131
	v_add_co_u32 v50, vcc_lo, v97, s2
	ds_write_b128 v127, v[213:216]
	ds_write_b128 v127, v[209:212] offset:16
	v_add_co_ci_u32_e64 v51, null, 0, v162, vcc_lo
	v_mov_b32_e32 v244, v230
	global_load_ushort v50, v[50:51], off
	s_waitcnt vmcnt(3)
	v_ashrrev_i32_e32 v34, v1, v34
	v_and_b32_e32 v34, 0xf0f0f0f, v34
	s_waitcnt vmcnt(2)
	v_mul_u32_u24_e32 v46, 0x10001, v46
	v_lshlrev_b16 v51, 8, v34
	v_and_b32_e32 v53, 0xf00, v34
	v_lshrrev_b32_e32 v34, 16, v34
	v_add_nc_u16 v51, 0xf800, v51
	v_or_b32_sdwa v51, v53, v51 dst_sel:DWORD dst_unused:UNUSED_PAD src0_sel:DWORD src1_sel:BYTE_1
	v_lshlrev_b16 v53, 8, v34
	v_and_b32_e32 v34, 0xf00, v34
	v_add_nc_u16 v51, 0xf800, v51
	v_add_nc_u16 v53, 0xf800, v53
	s_waitcnt vmcnt(0)
	v_mul_u32_u24_e32 v50, 0x10001, v50
	v_or_b32_sdwa v34, v34, v53 dst_sel:DWORD dst_unused:UNUSED_PAD src0_sel:DWORD src1_sel:BYTE_1
	v_lshrrev_b32_e32 v53, 8, v51
	v_cvt_f16_i16_sdwa v51, sext(v51) dst_sel:DWORD dst_unused:UNUSED_PAD src0_sel:BYTE_0
	v_add_nc_u16 v34, 0xf800, v34
	v_cvt_f16_i16_sdwa v53, sext(v53) dst_sel:DWORD dst_unused:UNUSED_PAD src0_sel:BYTE_0
	v_pack_b32_f16 v51, v51, v53
	v_lshrrev_b32_e32 v53, 8, v34
	v_cvt_f16_i16_sdwa v34, sext(v34) dst_sel:DWORD dst_unused:UNUSED_PAD src0_sel:BYTE_0
	v_pk_mul_f16 v122, v51, v46
	v_cvt_f16_i16_sdwa v53, sext(v53) dst_sel:DWORD dst_unused:UNUSED_PAD src0_sel:BYTE_0
	v_pack_b32_f16 v34, v34, v53
	v_pk_mul_f16 v34, v34, v46
	v_ashrrev_i32_e32 v46, v1, v52
	v_and_b32_e32 v46, 0xf0f0f0f, v46
	v_lshlrev_b16 v51, 8, v46
	v_and_b32_e32 v52, 0xf00, v46
	v_lshrrev_b32_e32 v46, 16, v46
	v_add_nc_u16 v51, 0xf800, v51
	v_or_b32_sdwa v51, v52, v51 dst_sel:DWORD dst_unused:UNUSED_PAD src0_sel:DWORD src1_sel:BYTE_1
	v_lshlrev_b16 v52, 8, v46
	v_and_b32_e32 v46, 0xf00, v46
	v_add_nc_u16 v51, 0xf800, v51
	v_add_nc_u16 v52, 0xf800, v52
	v_or_b32_sdwa v46, v46, v52 dst_sel:DWORD dst_unused:UNUSED_PAD src0_sel:DWORD src1_sel:BYTE_1
	v_lshrrev_b32_e32 v52, 8, v51
	v_cvt_f16_i16_sdwa v51, sext(v51) dst_sel:DWORD dst_unused:UNUSED_PAD src0_sel:BYTE_0
	v_add_nc_u16 v46, 0xf800, v46
	v_cvt_f16_i16_sdwa v52, sext(v52) dst_sel:DWORD dst_unused:UNUSED_PAD src0_sel:BYTE_0
	v_pack_b32_f16 v51, v51, v52
	v_lshrrev_b32_e32 v52, 8, v46
	v_cvt_f16_i16_sdwa v46, sext(v46) dst_sel:DWORD dst_unused:UNUSED_PAD src0_sel:BYTE_0
	v_pk_mul_f16 v123, v51, v50
	v_cvt_f16_i16_sdwa v52, sext(v52) dst_sel:DWORD dst_unused:UNUSED_PAD src0_sel:BYTE_0
	v_pk_fma_f16 v51, v34, v35, v214
	v_pack_b32_f16 v46, v46, v52
	v_pk_fma_f16 v52, v123, v35, v215
	v_pk_mul_f16 v46, v46, v50
	v_pk_fma_f16 v50, v122, v35, v213
	v_pk_fma_f16 v53, v46, v35, v216
	v_mul_u32_u24_sdwa v35, v47, v208 dst_sel:DWORD dst_unused:UNUSED_PAD src0_sel:WORD_1 src1_sel:DWORD
	ds_write_b128 v127, v[50:53]
	v_pk_fma_f16 v214, v34, v35, v210
	v_add_co_u32 v34, vcc_lo, v89, s2
	v_pk_fma_f16 v213, v122, v35, v209
	v_pk_fma_f16 v215, v123, v35, v211
	;; [unrolled: 1-line block ×3, first 2 shown]
	v_add_co_ci_u32_e64 v35, null, 0, v226, vcc_lo
	ds_write_b128 v127, v[213:216] offset:16
	global_load_dword v46, v[34:35], off
	v_add_co_u32 v34, vcc_lo, v95, s2
	v_add_co_ci_u32_e64 v35, null, 0, v92, vcc_lo
	global_load_ushort v47, v[34:35], off
	v_add_co_u32 v34, vcc_lo, v235, s2
	v_add_co_ci_u32_e64 v35, null, 0, v166, vcc_lo
	global_load_dword v122, v[34:35], off
	v_add_co_u32 v34, vcc_lo, v31, s2
	v_mov_b32_e32 v31, v176
	v_add_co_ci_u32_e64 v35, null, 0, v31, vcc_lo
	global_load_ushort v34, v[34:35], off
	s_waitcnt vmcnt(3)
	v_ashrrev_i32_e32 v35, v1, v46
	v_and_b32_e32 v35, 0xf0f0f0f, v35
	s_waitcnt vmcnt(2)
	v_mul_u32_u24_e32 v47, 0x10001, v47
	v_lshlrev_b16 v46, 8, v35
	v_and_b32_e32 v123, 0xf00, v35
	v_lshrrev_b32_e32 v35, 16, v35
	v_add_nc_u16 v46, 0xf800, v46
	v_or_b32_sdwa v46, v123, v46 dst_sel:DWORD dst_unused:UNUSED_PAD src0_sel:DWORD src1_sel:BYTE_1
	v_lshlrev_b16 v123, 8, v35
	v_and_b32_e32 v35, 0xf00, v35
	v_add_nc_u16 v46, 0xf800, v46
	v_add_nc_u16 v123, 0xf800, v123
	s_waitcnt vmcnt(0)
	v_mul_u32_u24_e32 v34, 0x10001, v34
	v_or_b32_sdwa v35, v35, v123 dst_sel:DWORD dst_unused:UNUSED_PAD src0_sel:DWORD src1_sel:BYTE_1
	v_lshrrev_b32_e32 v123, 8, v46
	v_cvt_f16_i16_sdwa v46, sext(v46) dst_sel:DWORD dst_unused:UNUSED_PAD src0_sel:BYTE_0
	v_add_nc_u16 v35, 0xf800, v35
	v_cvt_f16_i16_sdwa v123, sext(v123) dst_sel:DWORD dst_unused:UNUSED_PAD src0_sel:BYTE_0
	v_pack_b32_f16 v46, v46, v123
	v_lshrrev_b32_e32 v123, 8, v35
	v_cvt_f16_i16_sdwa v35, sext(v35) dst_sel:DWORD dst_unused:UNUSED_PAD src0_sel:BYTE_0
	v_pk_mul_f16 v46, v46, v47
	v_cvt_f16_i16_sdwa v123, sext(v123) dst_sel:DWORD dst_unused:UNUSED_PAD src0_sel:BYTE_0
	v_pack_b32_f16 v35, v35, v123
	v_pk_mul_f16 v35, v35, v47
	v_ashrrev_i32_e32 v47, v1, v122
	v_and_b32_e32 v47, 0xf0f0f0f, v47
	v_lshlrev_b16 v122, 8, v47
	v_and_b32_e32 v123, 0xf00, v47
	v_lshrrev_b32_e32 v47, 16, v47
	v_add_nc_u16 v122, 0xf800, v122
	v_or_b32_sdwa v122, v123, v122 dst_sel:DWORD dst_unused:UNUSED_PAD src0_sel:DWORD src1_sel:BYTE_1
	v_lshlrev_b16 v123, 8, v47
	v_and_b32_e32 v47, 0xf00, v47
	v_add_nc_u16 v122, 0xf800, v122
	v_add_nc_u16 v123, 0xf800, v123
	v_or_b32_sdwa v47, v47, v123 dst_sel:DWORD dst_unused:UNUSED_PAD src0_sel:DWORD src1_sel:BYTE_1
	v_lshrrev_b32_e32 v123, 8, v122
	v_cvt_f16_i16_sdwa v122, sext(v122) dst_sel:DWORD dst_unused:UNUSED_PAD src0_sel:BYTE_0
	v_add_nc_u16 v47, 0xf800, v47
	v_cvt_f16_i16_sdwa v123, sext(v123) dst_sel:DWORD dst_unused:UNUSED_PAD src0_sel:BYTE_0
	v_pack_b32_f16 v122, v122, v123
	v_lshrrev_b32_e32 v123, 8, v47
	v_cvt_f16_i16_sdwa v47, sext(v47) dst_sel:DWORD dst_unused:UNUSED_PAD src0_sel:BYTE_0
	v_pk_mul_f16 v122, v122, v34
	v_cvt_f16_i16_sdwa v123, sext(v123) dst_sel:DWORD dst_unused:UNUSED_PAD src0_sel:BYTE_0
	v_pack_b32_f16 v47, v47, v123
	v_pk_mul_f16 v34, v47, v34
	v_mul_u32_u24_sdwa v47, v36, v208 dst_sel:DWORD dst_unused:UNUSED_PAD src0_sel:WORD_0 src1_sel:DWORD
	v_mul_u32_u24_sdwa v36, v36, v208 dst_sel:DWORD dst_unused:UNUSED_PAD src0_sel:WORD_1 src1_sel:DWORD
	v_pk_fma_f16 v209, v46, v47, v50
	v_pk_fma_f16 v210, v35, v47, v51
	;; [unrolled: 1-line block ×4, first 2 shown]
	v_mul_u32_u24_sdwa v47, v48, v208 dst_sel:DWORD dst_unused:UNUSED_PAD src0_sel:WORD_0 src1_sel:DWORD
	ds_write_b128 v127, v[209:212]
	v_pk_fma_f16 v53, v34, v47, v216
	v_add_co_u32 v34, vcc_lo, v26, s2
	v_pk_fma_f16 v51, v35, v47, v214
	v_add_co_ci_u32_e64 v35, null, 0, v197, vcc_lo
	v_pk_fma_f16 v50, v46, v47, v213
	v_mov_b32_e32 v26, v225
	v_pk_fma_f16 v52, v122, v47, v215
	global_load_dword v46, v[34:35], off
	v_add_co_u32 v34, vcc_lo, v27, s2
	v_add_co_ci_u32_e64 v35, null, 0, v26, vcc_lo
	ds_write_b128 v127, v[50:53] offset:16
	global_load_ushort v47, v[34:35], off
	v_add_co_u32 v34, vcc_lo, v237, s2
	v_add_co_ci_u32_e64 v35, null, 0, v121, vcc_lo
	v_mov_b32_e32 v237, v69
	global_load_dword v122, v[34:35], off
	v_add_co_u32 v34, vcc_lo, v255, s2
	v_add_co_ci_u32_e64 v35, null, 0, v81, vcc_lo
	global_load_ushort v34, v[34:35], off
	s_waitcnt vmcnt(3)
	v_ashrrev_i32_e32 v35, v1, v46
	v_and_b32_e32 v35, 0xf0f0f0f, v35
	s_waitcnt vmcnt(2)
	v_mul_u32_u24_e32 v47, 0x10001, v47
	v_lshlrev_b16 v46, 8, v35
	v_and_b32_e32 v123, 0xf00, v35
	v_lshrrev_b32_e32 v35, 16, v35
	v_add_nc_u16 v46, 0xf800, v46
	v_or_b32_sdwa v46, v123, v46 dst_sel:DWORD dst_unused:UNUSED_PAD src0_sel:DWORD src1_sel:BYTE_1
	v_lshlrev_b16 v123, 8, v35
	v_and_b32_e32 v35, 0xf00, v35
	s_waitcnt vmcnt(0)
	v_mul_u32_u24_e32 v34, 0x10001, v34
	v_add_nc_u16 v46, 0xf800, v46
	v_add_nc_u16 v123, 0xf800, v123
	v_or_b32_sdwa v35, v35, v123 dst_sel:DWORD dst_unused:UNUSED_PAD src0_sel:DWORD src1_sel:BYTE_1
	v_lshrrev_b32_e32 v123, 8, v46
	v_cvt_f16_i16_sdwa v46, sext(v46) dst_sel:DWORD dst_unused:UNUSED_PAD src0_sel:BYTE_0
	v_add_nc_u16 v35, 0xf800, v35
	v_cvt_f16_i16_sdwa v123, sext(v123) dst_sel:DWORD dst_unused:UNUSED_PAD src0_sel:BYTE_0
	v_pack_b32_f16 v46, v46, v123
	v_lshrrev_b32_e32 v123, 8, v35
	v_cvt_f16_i16_sdwa v35, sext(v35) dst_sel:DWORD dst_unused:UNUSED_PAD src0_sel:BYTE_0
	v_pk_mul_f16 v46, v46, v47
	v_cvt_f16_i16_sdwa v123, sext(v123) dst_sel:DWORD dst_unused:UNUSED_PAD src0_sel:BYTE_0
	v_pk_fma_f16 v213, v46, v36, v209
	v_pack_b32_f16 v35, v35, v123
	v_pk_mul_f16 v35, v35, v47
	v_ashrrev_i32_e32 v47, v1, v122
	v_pk_fma_f16 v214, v35, v36, v210
	v_and_b32_e32 v47, 0xf0f0f0f, v47
	v_lshlrev_b16 v122, 8, v47
	v_and_b32_e32 v123, 0xf00, v47
	v_lshrrev_b32_e32 v47, 16, v47
	v_add_nc_u16 v122, 0xf800, v122
	v_or_b32_sdwa v122, v123, v122 dst_sel:DWORD dst_unused:UNUSED_PAD src0_sel:DWORD src1_sel:BYTE_1
	v_lshlrev_b16 v123, 8, v47
	v_and_b32_e32 v47, 0xf00, v47
	v_add_nc_u16 v122, 0xf800, v122
	v_add_nc_u16 v123, 0xf800, v123
	v_or_b32_sdwa v47, v47, v123 dst_sel:DWORD dst_unused:UNUSED_PAD src0_sel:DWORD src1_sel:BYTE_1
	v_lshrrev_b32_e32 v123, 8, v122
	v_cvt_f16_i16_sdwa v122, sext(v122) dst_sel:DWORD dst_unused:UNUSED_PAD src0_sel:BYTE_0
	v_add_nc_u16 v47, 0xf800, v47
	v_cvt_f16_i16_sdwa v123, sext(v123) dst_sel:DWORD dst_unused:UNUSED_PAD src0_sel:BYTE_0
	v_pack_b32_f16 v122, v122, v123
	v_lshrrev_b32_e32 v123, 8, v47
	v_cvt_f16_i16_sdwa v47, sext(v47) dst_sel:DWORD dst_unused:UNUSED_PAD src0_sel:BYTE_0
	v_pk_mul_f16 v122, v122, v34
	v_cvt_f16_i16_sdwa v123, sext(v123) dst_sel:DWORD dst_unused:UNUSED_PAD src0_sel:BYTE_0
	v_pk_fma_f16 v215, v122, v36, v211
	v_pack_b32_f16 v47, v47, v123
	v_pk_mul_f16 v34, v47, v34
	v_pk_fma_f16 v216, v34, v36, v212
	v_mul_u32_u24_sdwa v36, v48, v208 dst_sel:DWORD dst_unused:UNUSED_PAD src0_sel:WORD_1 src1_sel:DWORD
	ds_write_b128 v127, v[213:216]
	v_pk_fma_f16 v212, v34, v36, v53
	v_add_co_u32 v34, vcc_lo, v33, s2
	v_pk_fma_f16 v210, v35, v36, v51
	v_add_co_ci_u32_e64 v35, null, 0, v32, vcc_lo
	v_pk_fma_f16 v209, v46, v36, v50
	v_pk_fma_f16 v211, v122, v36, v52
	v_mov_b32_e32 v32, v223
	global_load_dword v36, v[34:35], off
	v_add_co_u32 v34, vcc_lo, v30, s2
	v_add_co_ci_u32_e64 v35, null, 0, v21, vcc_lo
	ds_write_b128 v127, v[209:212] offset:16
	v_mov_b32_e32 v30, v179
	v_mov_b32_e32 v33, v31
	global_load_ushort v46, v[34:35], off
	v_add_co_u32 v34, vcc_lo, v29, s2
	v_add_co_ci_u32_e64 v35, null, 0, v28, vcc_lo
	v_mov_b32_e32 v28, v204
	v_mov_b32_e32 v29, v26
	global_load_dword v47, v[34:35], off
	v_add_co_u32 v34, vcc_lo, v16, s2
	v_add_co_ci_u32_e64 v35, null, 0, v15, vcc_lo
	global_load_ushort v34, v[34:35], off
	s_waitcnt vmcnt(3)
	v_ashrrev_i32_e32 v35, v1, v36
	v_and_b32_e32 v35, 0xf0f0f0f, v35
	s_waitcnt vmcnt(2)
	v_mul_u32_u24_e32 v46, 0x10001, v46
	v_lshlrev_b16 v36, 8, v35
	v_and_b32_e32 v48, 0xf00, v35
	v_lshrrev_b32_e32 v35, 16, v35
	v_add_nc_u16 v36, 0xf800, v36
	v_or_b32_sdwa v36, v48, v36 dst_sel:DWORD dst_unused:UNUSED_PAD src0_sel:DWORD src1_sel:BYTE_1
	v_lshlrev_b16 v48, 8, v35
	v_and_b32_e32 v35, 0xf00, v35
	s_waitcnt vmcnt(0)
	v_mul_u32_u24_e32 v34, 0x10001, v34
	v_add_nc_u16 v36, 0xf800, v36
	v_add_nc_u16 v48, 0xf800, v48
	v_or_b32_sdwa v35, v35, v48 dst_sel:DWORD dst_unused:UNUSED_PAD src0_sel:DWORD src1_sel:BYTE_1
	v_lshrrev_b32_e32 v48, 8, v36
	v_cvt_f16_i16_sdwa v36, sext(v36) dst_sel:DWORD dst_unused:UNUSED_PAD src0_sel:BYTE_0
	v_add_nc_u16 v35, 0xf800, v35
	v_cvt_f16_i16_sdwa v48, sext(v48) dst_sel:DWORD dst_unused:UNUSED_PAD src0_sel:BYTE_0
	v_pack_b32_f16 v36, v36, v48
	v_lshrrev_b32_e32 v48, 8, v35
	v_cvt_f16_i16_sdwa v35, sext(v35) dst_sel:DWORD dst_unused:UNUSED_PAD src0_sel:BYTE_0
	v_pk_mul_f16 v36, v36, v46
	v_cvt_f16_i16_sdwa v48, sext(v48) dst_sel:DWORD dst_unused:UNUSED_PAD src0_sel:BYTE_0
	v_pack_b32_f16 v35, v35, v48
	v_pk_mul_f16 v35, v35, v46
	v_ashrrev_i32_e32 v46, v1, v47
	v_and_b32_e32 v46, 0xf0f0f0f, v46
	v_lshlrev_b16 v47, 8, v46
	v_and_b32_e32 v48, 0xf00, v46
	v_lshrrev_b32_e32 v46, 16, v46
	v_add_nc_u16 v47, 0xf800, v47
	v_or_b32_sdwa v47, v48, v47 dst_sel:DWORD dst_unused:UNUSED_PAD src0_sel:DWORD src1_sel:BYTE_1
	v_lshlrev_b16 v48, 8, v46
	v_and_b32_e32 v46, 0xf00, v46
	v_add_nc_u16 v47, 0xf800, v47
	v_add_nc_u16 v48, 0xf800, v48
	v_or_b32_sdwa v46, v46, v48 dst_sel:DWORD dst_unused:UNUSED_PAD src0_sel:DWORD src1_sel:BYTE_1
	v_lshrrev_b32_e32 v48, 8, v47
	v_cvt_f16_i16_sdwa v47, sext(v47) dst_sel:DWORD dst_unused:UNUSED_PAD src0_sel:BYTE_0
	v_add_nc_u16 v46, 0xf800, v46
	v_cvt_f16_i16_sdwa v48, sext(v48) dst_sel:DWORD dst_unused:UNUSED_PAD src0_sel:BYTE_0
	v_pack_b32_f16 v47, v47, v48
	v_lshrrev_b32_e32 v48, 8, v46
	v_cvt_f16_i16_sdwa v46, sext(v46) dst_sel:DWORD dst_unused:UNUSED_PAD src0_sel:BYTE_0
	v_pk_mul_f16 v47, v47, v34
	v_cvt_f16_i16_sdwa v48, sext(v48) dst_sel:DWORD dst_unused:UNUSED_PAD src0_sel:BYTE_0
	v_pack_b32_f16 v46, v46, v48
	v_pk_mul_f16 v34, v46, v34
	v_mul_u32_u24_sdwa v46, v37, v208 dst_sel:DWORD dst_unused:UNUSED_PAD src0_sel:WORD_0 src1_sel:DWORD
	v_mul_u32_u24_sdwa v37, v37, v208 dst_sel:DWORD dst_unused:UNUSED_PAD src0_sel:WORD_1 src1_sel:DWORD
	v_pk_fma_f16 v50, v36, v46, v213
	v_pk_fma_f16 v51, v35, v46, v214
	;; [unrolled: 1-line block ×4, first 2 shown]
	v_mul_u32_u24_sdwa v46, v49, v208 dst_sel:DWORD dst_unused:UNUSED_PAD src0_sel:WORD_0 src1_sel:DWORD
	v_mul_u32_u24_sdwa v49, v49, v208 dst_sel:DWORD dst_unused:UNUSED_PAD src0_sel:WORD_1 src1_sel:DWORD
	ds_write_b128 v127, v[50:53]
	v_pk_fma_f16 v216, v34, v46, v212
	v_add_co_u32 v34, vcc_lo, v25, s2
	v_pk_fma_f16 v214, v35, v46, v210
	v_add_co_ci_u32_e64 v35, null, 0, v24, vcc_lo
	v_pk_fma_f16 v213, v36, v46, v209
	v_pk_fma_f16 v215, v47, v46, v211
	v_mov_b32_e32 v24, v170
	global_load_dword v36, v[34:35], off
	v_add_co_u32 v34, vcc_lo, v12, s2
	v_add_co_ci_u32_e64 v35, null, 0, v11, vcc_lo
	ds_write_b128 v127, v[213:216] offset:16
	global_load_ushort v46, v[34:35], off
	v_add_co_u32 v34, vcc_lo, v6, s2
	v_add_co_ci_u32_e64 v35, null, 0, v20, vcc_lo
	v_mov_b32_e32 v6, v23
	v_mov_b32_e32 v23, v99
	global_load_dword v47, v[34:35], off
	v_add_co_u32 v34, vcc_lo, v18, s2
	v_add_co_ci_u32_e64 v35, null, 0, v6, vcc_lo
	global_load_ushort v34, v[34:35], off
	s_waitcnt vmcnt(3)
	v_ashrrev_i32_e32 v35, v1, v36
	v_and_b32_e32 v35, 0xf0f0f0f, v35
	s_waitcnt vmcnt(2)
	v_mul_u32_u24_e32 v46, 0x10001, v46
	v_lshlrev_b16 v36, 8, v35
	v_and_b32_e32 v48, 0xf00, v35
	v_lshrrev_b32_e32 v35, 16, v35
	v_add_nc_u16 v36, 0xf800, v36
	v_or_b32_sdwa v36, v48, v36 dst_sel:DWORD dst_unused:UNUSED_PAD src0_sel:DWORD src1_sel:BYTE_1
	v_lshlrev_b16 v48, 8, v35
	v_and_b32_e32 v35, 0xf00, v35
	s_waitcnt vmcnt(0)
	v_mul_u32_u24_e32 v34, 0x10001, v34
	v_add_nc_u16 v36, 0xf800, v36
	v_add_nc_u16 v48, 0xf800, v48
	v_or_b32_sdwa v35, v35, v48 dst_sel:DWORD dst_unused:UNUSED_PAD src0_sel:DWORD src1_sel:BYTE_1
	v_lshrrev_b32_e32 v48, 8, v36
	v_cvt_f16_i16_sdwa v36, sext(v36) dst_sel:DWORD dst_unused:UNUSED_PAD src0_sel:BYTE_0
	v_add_nc_u16 v35, 0xf800, v35
	v_cvt_f16_i16_sdwa v48, sext(v48) dst_sel:DWORD dst_unused:UNUSED_PAD src0_sel:BYTE_0
	v_pack_b32_f16 v36, v36, v48
	v_lshrrev_b32_e32 v48, 8, v35
	v_cvt_f16_i16_sdwa v35, sext(v35) dst_sel:DWORD dst_unused:UNUSED_PAD src0_sel:BYTE_0
	v_cvt_f16_i16_sdwa v48, sext(v48) dst_sel:DWORD dst_unused:UNUSED_PAD src0_sel:BYTE_0
	v_pack_b32_f16 v35, v35, v48
	v_pk_mul_f16 v48, v36, v46
	v_pk_mul_f16 v122, v35, v46
	v_ashrrev_i32_e32 v35, v1, v47
	v_pk_fma_f16 v47, v122, v49, v214
	v_and_b32_e32 v35, 0xf0f0f0f, v35
	v_lshlrev_b16 v36, 8, v35
	v_and_b32_e32 v46, 0xf00, v35
	v_lshrrev_b32_e32 v35, 16, v35
	v_add_nc_u16 v36, 0xf800, v36
	v_or_b32_sdwa v36, v46, v36 dst_sel:DWORD dst_unused:UNUSED_PAD src0_sel:DWORD src1_sel:BYTE_1
	v_lshlrev_b16 v46, 8, v35
	v_and_b32_e32 v35, 0xf00, v35
	v_add_nc_u16 v36, 0xf800, v36
	v_add_nc_u16 v46, 0xf800, v46
	v_or_b32_sdwa v35, v35, v46 dst_sel:DWORD dst_unused:UNUSED_PAD src0_sel:DWORD src1_sel:BYTE_1
	v_lshrrev_b32_e32 v46, 8, v36
	v_cvt_f16_i16_sdwa v36, sext(v36) dst_sel:DWORD dst_unused:UNUSED_PAD src0_sel:BYTE_0
	v_add_nc_u16 v35, 0xf800, v35
	v_cvt_f16_i16_sdwa v46, sext(v46) dst_sel:DWORD dst_unused:UNUSED_PAD src0_sel:BYTE_0
	v_pack_b32_f16 v36, v36, v46
	v_lshrrev_b32_e32 v46, 8, v35
	v_cvt_f16_i16_sdwa v35, sext(v35) dst_sel:DWORD dst_unused:UNUSED_PAD src0_sel:BYTE_0
	v_pk_mul_f16 v123, v36, v34
	v_cvt_f16_i16_sdwa v46, sext(v46) dst_sel:DWORD dst_unused:UNUSED_PAD src0_sel:BYTE_0
	v_pk_fma_f16 v36, v123, v37, v52
	v_pack_b32_f16 v35, v35, v46
	v_pk_fma_f16 v46, v48, v49, v213
	v_pk_mul_f16 v124, v35, v34
	v_pk_fma_f16 v34, v48, v37, v50
	v_add_co_u32 v50, vcc_lo, v82, s2
	v_mov_b32_e32 v82, v17
	v_pk_fma_f16 v35, v122, v37, v51
	v_pk_fma_f16 v37, v124, v37, v53
	;; [unrolled: 1-line block ×4, first 2 shown]
	v_add_co_ci_u32_e64 v51, null, 0, v82, vcc_lo
	ds_write_b128 v127, v[34:37]
	v_mov_b32_e32 v17, v218
	ds_write_b128 v127, v[46:49] offset:16
	global_load_dword v52, v[50:51], off
	v_add_co_u32 v50, vcc_lo, v4, s2
	v_add_co_ci_u32_e64 v51, null, 0, v5, vcc_lo
	global_load_ushort v53, v[50:51], off
	v_add_co_u32 v50, vcc_lo, v86, s2
	v_add_co_ci_u32_e64 v51, null, 0, v168, vcc_lo
	global_load_dword v122, v[50:51], off
	v_add_co_u32 v50, vcc_lo, v229, s2
	v_add_co_ci_u32_e64 v51, null, 0, v164, vcc_lo
	global_load_ushort v50, v[50:51], off
	s_waitcnt vmcnt(3)
	v_ashrrev_i32_e32 v51, v1, v52
	v_and_b32_e32 v51, 0xf0f0f0f, v51
	s_waitcnt vmcnt(2)
	v_mul_u32_u24_e32 v53, 0x10001, v53
	v_lshlrev_b16 v52, 8, v51
	v_and_b32_e32 v123, 0xf00, v51
	v_lshrrev_b32_e32 v51, 16, v51
	v_add_nc_u16 v52, 0xf800, v52
	v_or_b32_sdwa v52, v123, v52 dst_sel:DWORD dst_unused:UNUSED_PAD src0_sel:DWORD src1_sel:BYTE_1
	v_lshlrev_b16 v123, 8, v51
	v_and_b32_e32 v51, 0xf00, v51
	s_waitcnt vmcnt(0)
	v_mul_u32_u24_e32 v50, 0x10001, v50
	v_add_nc_u16 v52, 0xf800, v52
	v_add_nc_u16 v123, 0xf800, v123
	v_or_b32_sdwa v51, v51, v123 dst_sel:DWORD dst_unused:UNUSED_PAD src0_sel:DWORD src1_sel:BYTE_1
	v_lshrrev_b32_e32 v123, 8, v52
	v_cvt_f16_i16_sdwa v52, sext(v52) dst_sel:DWORD dst_unused:UNUSED_PAD src0_sel:BYTE_0
	v_add_nc_u16 v51, 0xf800, v51
	v_cvt_f16_i16_sdwa v123, sext(v123) dst_sel:DWORD dst_unused:UNUSED_PAD src0_sel:BYTE_0
	v_pack_b32_f16 v52, v52, v123
	v_lshrrev_b32_e32 v123, 8, v51
	v_cvt_f16_i16_sdwa v51, sext(v51) dst_sel:DWORD dst_unused:UNUSED_PAD src0_sel:BYTE_0
	v_cvt_f16_i16_sdwa v123, sext(v123) dst_sel:DWORD dst_unused:UNUSED_PAD src0_sel:BYTE_0
	v_pack_b32_f16 v51, v51, v123
	v_pk_mul_f16 v123, v52, v53
	v_pk_mul_f16 v124, v51, v53
	v_ashrrev_i32_e32 v51, v1, v122
	v_and_b32_e32 v51, 0xf0f0f0f, v51
	v_lshlrev_b16 v52, 8, v51
	v_and_b32_e32 v53, 0xf00, v51
	v_lshrrev_b32_e32 v51, 16, v51
	v_add_nc_u16 v52, 0xf800, v52
	v_or_b32_sdwa v52, v53, v52 dst_sel:DWORD dst_unused:UNUSED_PAD src0_sel:DWORD src1_sel:BYTE_1
	v_lshlrev_b16 v53, 8, v51
	v_and_b32_e32 v51, 0xf00, v51
	v_add_nc_u16 v52, 0xf800, v52
	v_add_nc_u16 v53, 0xf800, v53
	v_or_b32_sdwa v51, v51, v53 dst_sel:DWORD dst_unused:UNUSED_PAD src0_sel:DWORD src1_sel:BYTE_1
	v_lshrrev_b32_e32 v53, 8, v52
	v_cvt_f16_i16_sdwa v52, sext(v52) dst_sel:DWORD dst_unused:UNUSED_PAD src0_sel:BYTE_0
	v_add_nc_u16 v51, 0xf800, v51
	v_cvt_f16_i16_sdwa v53, sext(v53) dst_sel:DWORD dst_unused:UNUSED_PAD src0_sel:BYTE_0
	v_pack_b32_f16 v52, v52, v53
	v_lshrrev_b32_e32 v53, 8, v51
	v_cvt_f16_i16_sdwa v51, sext(v51) dst_sel:DWORD dst_unused:UNUSED_PAD src0_sel:BYTE_0
	v_pk_mul_f16 v122, v52, v50
	v_cvt_f16_i16_sdwa v53, sext(v53) dst_sel:DWORD dst_unused:UNUSED_PAD src0_sel:BYTE_0
	v_pack_b32_f16 v51, v51, v53
	v_mul_u32_u24_sdwa v53, v42, v208 dst_sel:DWORD dst_unused:UNUSED_PAD src0_sel:WORD_0 src1_sel:DWORD
	v_mul_u32_u24_sdwa v42, v42, v208 dst_sel:DWORD dst_unused:UNUSED_PAD src0_sel:WORD_1 src1_sel:DWORD
	v_pk_mul_f16 v128, v51, v50
	v_pk_fma_f16 v50, v123, v53, v34
	v_pk_fma_f16 v51, v124, v53, v35
	v_pk_fma_f16 v52, v122, v53, v36
	v_pk_fma_f16 v53, v128, v53, v37
	v_mul_u32_u24_sdwa v37, v38, v208 dst_sel:DWORD dst_unused:UNUSED_PAD src0_sel:WORD_0 src1_sel:DWORD
	v_mul_u32_u24_sdwa v38, v38, v208 dst_sel:DWORD dst_unused:UNUSED_PAD src0_sel:WORD_1 src1_sel:DWORD
	ds_write_b128 v127, v[50:53]
	v_pk_fma_f16 v34, v123, v37, v46
	v_add_co_u32 v46, vcc_lo, v125, s2
	v_pk_fma_f16 v35, v124, v37, v47
	v_add_co_ci_u32_e64 v47, null, 0, v73, vcc_lo
	v_pk_fma_f16 v36, v122, v37, v48
	v_pk_fma_f16 v37, v128, v37, v49
	v_mov_b32_e32 v125, v233
	global_load_dword v48, v[46:47], off
	v_add_co_u32 v46, vcc_lo, v80, s2
	v_add_co_ci_u32_e64 v47, null, 0, v83, vcc_lo
	ds_write_b128 v127, v[34:37] offset:16
	v_mov_b32_e32 v233, v10
	global_load_ushort v49, v[46:47], off
	v_add_co_u32 v46, vcc_lo, v74, s2
	v_add_co_ci_u32_e64 v47, null, 0, v90, vcc_lo
	v_mov_b32_e32 v74, v57
	global_load_dword v122, v[46:47], off
	v_add_co_u32 v46, vcc_lo, v222, s2
	v_add_co_ci_u32_e64 v47, null, 0, v195, vcc_lo
	global_load_ushort v46, v[46:47], off
	s_waitcnt vmcnt(3)
	v_ashrrev_i32_e32 v47, v1, v48
	v_and_b32_e32 v47, 0xf0f0f0f, v47
	s_waitcnt vmcnt(2)
	v_mul_u32_u24_e32 v49, 0x10001, v49
	v_lshlrev_b16 v48, 8, v47
	v_and_b32_e32 v123, 0xf00, v47
	v_lshrrev_b32_e32 v47, 16, v47
	v_add_nc_u16 v48, 0xf800, v48
	v_or_b32_sdwa v48, v123, v48 dst_sel:DWORD dst_unused:UNUSED_PAD src0_sel:DWORD src1_sel:BYTE_1
	v_lshlrev_b16 v123, 8, v47
	v_and_b32_e32 v47, 0xf00, v47
	s_waitcnt vmcnt(0)
	v_mul_u32_u24_e32 v46, 0x10001, v46
	v_add_nc_u16 v48, 0xf800, v48
	v_add_nc_u16 v123, 0xf800, v123
	v_or_b32_sdwa v47, v47, v123 dst_sel:DWORD dst_unused:UNUSED_PAD src0_sel:DWORD src1_sel:BYTE_1
	v_lshrrev_b32_e32 v123, 8, v48
	v_cvt_f16_i16_sdwa v48, sext(v48) dst_sel:DWORD dst_unused:UNUSED_PAD src0_sel:BYTE_0
	v_add_nc_u16 v47, 0xf800, v47
	v_cvt_f16_i16_sdwa v123, sext(v123) dst_sel:DWORD dst_unused:UNUSED_PAD src0_sel:BYTE_0
	v_pack_b32_f16 v48, v48, v123
	v_lshrrev_b32_e32 v123, 8, v47
	v_cvt_f16_i16_sdwa v47, sext(v47) dst_sel:DWORD dst_unused:UNUSED_PAD src0_sel:BYTE_0
	v_cvt_f16_i16_sdwa v123, sext(v123) dst_sel:DWORD dst_unused:UNUSED_PAD src0_sel:BYTE_0
	v_pack_b32_f16 v47, v47, v123
	v_pk_mul_f16 v123, v48, v49
	v_pk_mul_f16 v124, v47, v49
	v_ashrrev_i32_e32 v47, v1, v122
	v_and_b32_e32 v47, 0xf0f0f0f, v47
	v_lshlrev_b16 v48, 8, v47
	v_and_b32_e32 v49, 0xf00, v47
	v_lshrrev_b32_e32 v47, 16, v47
	v_add_nc_u16 v48, 0xf800, v48
	v_or_b32_sdwa v48, v49, v48 dst_sel:DWORD dst_unused:UNUSED_PAD src0_sel:DWORD src1_sel:BYTE_1
	v_lshlrev_b16 v49, 8, v47
	v_and_b32_e32 v47, 0xf00, v47
	v_add_nc_u16 v48, 0xf800, v48
	v_add_nc_u16 v49, 0xf800, v49
	v_or_b32_sdwa v47, v47, v49 dst_sel:DWORD dst_unused:UNUSED_PAD src0_sel:DWORD src1_sel:BYTE_1
	v_lshrrev_b32_e32 v49, 8, v48
	v_cvt_f16_i16_sdwa v48, sext(v48) dst_sel:DWORD dst_unused:UNUSED_PAD src0_sel:BYTE_0
	v_add_nc_u16 v47, 0xf800, v47
	v_cvt_f16_i16_sdwa v49, sext(v49) dst_sel:DWORD dst_unused:UNUSED_PAD src0_sel:BYTE_0
	v_pack_b32_f16 v48, v48, v49
	v_lshrrev_b32_e32 v49, 8, v47
	v_cvt_f16_i16_sdwa v47, sext(v47) dst_sel:DWORD dst_unused:UNUSED_PAD src0_sel:BYTE_0
	v_pk_mul_f16 v122, v48, v46
	v_cvt_f16_i16_sdwa v49, sext(v49) dst_sel:DWORD dst_unused:UNUSED_PAD src0_sel:BYTE_0
	v_pk_fma_f16 v48, v122, v42, v52
	v_pack_b32_f16 v47, v47, v49
	v_pk_fma_f16 v52, v122, v38, v36
	v_pk_mul_f16 v128, v47, v46
	v_pk_fma_f16 v46, v123, v42, v50
	v_pk_fma_f16 v50, v123, v38, v34
	v_add_co_u32 v34, vcc_lo, v221, s2
	v_pk_fma_f16 v47, v124, v42, v51
	v_pk_fma_f16 v51, v124, v38, v35
	v_add_co_ci_u32_e64 v35, null, 0, v125, vcc_lo
	v_pk_fma_f16 v49, v128, v42, v53
	v_pk_fma_f16 v53, v128, v38, v37
	global_load_dword v36, v[34:35], off
	v_add_co_u32 v34, vcc_lo, v74, s2
	v_add_co_ci_u32_e64 v35, null, 0, v119, vcc_lo
	ds_write_b128 v127, v[46:49]
	ds_write_b128 v127, v[50:53] offset:16
	global_load_ushort v37, v[34:35], off
	v_add_co_u32 v34, vcc_lo, v146, s2
	v_add_co_ci_u32_e64 v35, null, 0, v148, vcc_lo
	global_load_dword v38, v[34:35], off
	v_add_co_u32 v34, vcc_lo, v167, s2
	v_add_co_ci_u32_e64 v35, null, 0, v163, vcc_lo
	v_mov_b32_e32 v167, v83
	v_mov_b32_e32 v163, v86
	global_load_ushort v34, v[34:35], off
	s_waitcnt vmcnt(3)
	v_ashrrev_i32_e32 v35, v1, v36
	v_and_b32_e32 v35, 0xf0f0f0f, v35
	s_waitcnt vmcnt(2)
	v_mul_u32_u24_e32 v37, 0x10001, v37
	v_lshlrev_b16 v36, 8, v35
	v_and_b32_e32 v42, 0xf00, v35
	v_lshrrev_b32_e32 v35, 16, v35
	v_add_nc_u16 v36, 0xf800, v36
	v_or_b32_sdwa v36, v42, v36 dst_sel:DWORD dst_unused:UNUSED_PAD src0_sel:DWORD src1_sel:BYTE_1
	v_lshlrev_b16 v42, 8, v35
	v_and_b32_e32 v35, 0xf00, v35
	s_waitcnt vmcnt(0)
	v_mul_u32_u24_e32 v34, 0x10001, v34
	v_add_nc_u16 v36, 0xf800, v36
	v_add_nc_u16 v42, 0xf800, v42
	v_or_b32_sdwa v35, v35, v42 dst_sel:DWORD dst_unused:UNUSED_PAD src0_sel:DWORD src1_sel:BYTE_1
	v_lshrrev_b32_e32 v42, 8, v36
	v_cvt_f16_i16_sdwa v36, sext(v36) dst_sel:DWORD dst_unused:UNUSED_PAD src0_sel:BYTE_0
	v_add_nc_u16 v35, 0xf800, v35
	v_cvt_f16_i16_sdwa v42, sext(v42) dst_sel:DWORD dst_unused:UNUSED_PAD src0_sel:BYTE_0
	v_pack_b32_f16 v36, v36, v42
	v_lshrrev_b32_e32 v42, 8, v35
	v_cvt_f16_i16_sdwa v35, sext(v35) dst_sel:DWORD dst_unused:UNUSED_PAD src0_sel:BYTE_0
	v_cvt_f16_i16_sdwa v42, sext(v42) dst_sel:DWORD dst_unused:UNUSED_PAD src0_sel:BYTE_0
	v_pack_b32_f16 v35, v35, v42
	v_pk_mul_f16 v42, v36, v37
	v_pk_mul_f16 v122, v35, v37
	v_ashrrev_i32_e32 v35, v1, v38
	v_and_b32_e32 v35, 0xf0f0f0f, v35
	v_lshlrev_b16 v36, 8, v35
	v_and_b32_e32 v37, 0xf00, v35
	v_lshrrev_b32_e32 v35, 16, v35
	v_add_nc_u16 v36, 0xf800, v36
	v_or_b32_sdwa v36, v37, v36 dst_sel:DWORD dst_unused:UNUSED_PAD src0_sel:DWORD src1_sel:BYTE_1
	v_lshlrev_b16 v37, 8, v35
	v_and_b32_e32 v35, 0xf00, v35
	v_add_nc_u16 v36, 0xf800, v36
	v_add_nc_u16 v37, 0xf800, v37
	v_or_b32_sdwa v35, v35, v37 dst_sel:DWORD dst_unused:UNUSED_PAD src0_sel:DWORD src1_sel:BYTE_1
	v_lshrrev_b32_e32 v37, 8, v36
	v_cvt_f16_i16_sdwa v36, sext(v36) dst_sel:DWORD dst_unused:UNUSED_PAD src0_sel:BYTE_0
	v_add_nc_u16 v35, 0xf800, v35
	v_cvt_f16_i16_sdwa v37, sext(v37) dst_sel:DWORD dst_unused:UNUSED_PAD src0_sel:BYTE_0
	v_pack_b32_f16 v36, v36, v37
	v_lshrrev_b32_e32 v37, 8, v35
	v_cvt_f16_i16_sdwa v35, sext(v35) dst_sel:DWORD dst_unused:UNUSED_PAD src0_sel:BYTE_0
	v_pk_mul_f16 v38, v36, v34
	v_cvt_f16_i16_sdwa v37, sext(v37) dst_sel:DWORD dst_unused:UNUSED_PAD src0_sel:BYTE_0
	v_pack_b32_f16 v35, v35, v37
	v_mul_u32_u24_sdwa v37, v43, v208 dst_sel:DWORD dst_unused:UNUSED_PAD src0_sel:WORD_0 src1_sel:DWORD
	v_mul_u32_u24_sdwa v43, v43, v208 dst_sel:DWORD dst_unused:UNUSED_PAD src0_sel:WORD_1 src1_sel:DWORD
	v_pk_mul_f16 v123, v35, v34
	v_pk_fma_f16 v34, v42, v37, v46
	v_pk_fma_f16 v35, v122, v37, v47
	;; [unrolled: 1-line block ×4, first 2 shown]
	v_mul_u32_u24_sdwa v49, v39, v208 dst_sel:DWORD dst_unused:UNUSED_PAD src0_sel:WORD_0 src1_sel:DWORD
	ds_write_b128 v127, v[34:37]
	v_pk_fma_f16 v46, v42, v49, v50
	v_add_co_u32 v50, vcc_lo, v137, s2
	v_pk_fma_f16 v47, v122, v49, v51
	v_add_co_ci_u32_e64 v51, null, 0, v227, vcc_lo
	v_pk_fma_f16 v48, v38, v49, v52
	v_pk_fma_f16 v49, v123, v49, v53
	global_load_dword v38, v[50:51], off
	v_add_co_u32 v50, vcc_lo, v155, s2
	v_add_co_ci_u32_e64 v51, null, 0, v228, vcc_lo
	ds_write_b128 v127, v[46:49] offset:16
	v_mov_b32_e32 v155, v177
	global_load_ushort v42, v[50:51], off
	v_add_co_u32 v50, vcc_lo, v220, s2
	v_add_co_ci_u32_e64 v51, null, 0, v75, vcc_lo
	global_load_dword v52, v[50:51], off
	v_add_co_u32 v50, vcc_lo, v153, s2
	v_add_co_ci_u32_e64 v51, null, 0, v154, vcc_lo
	v_mov_b32_e32 v153, v114
	v_mov_b32_e32 v154, v195
	;; [unrolled: 1-line block ×3, first 2 shown]
	global_load_ushort v50, v[50:51], off
	s_waitcnt vmcnt(3)
	v_ashrrev_i32_e32 v38, v1, v38
	v_and_b32_e32 v38, 0xf0f0f0f, v38
	s_waitcnt vmcnt(2)
	v_mul_u32_u24_e32 v42, 0x10001, v42
	v_lshlrev_b16 v51, 8, v38
	v_and_b32_e32 v53, 0xf00, v38
	v_lshrrev_b32_e32 v38, 16, v38
	v_add_nc_u16 v51, 0xf800, v51
	v_or_b32_sdwa v51, v53, v51 dst_sel:DWORD dst_unused:UNUSED_PAD src0_sel:DWORD src1_sel:BYTE_1
	v_lshlrev_b16 v53, 8, v38
	v_and_b32_e32 v38, 0xf00, v38
	s_waitcnt vmcnt(0)
	v_mul_u32_u24_e32 v50, 0x10001, v50
	v_add_nc_u16 v51, 0xf800, v51
	v_add_nc_u16 v53, 0xf800, v53
	v_or_b32_sdwa v38, v38, v53 dst_sel:DWORD dst_unused:UNUSED_PAD src0_sel:DWORD src1_sel:BYTE_1
	v_lshrrev_b32_e32 v53, 8, v51
	v_cvt_f16_i16_sdwa v51, sext(v51) dst_sel:DWORD dst_unused:UNUSED_PAD src0_sel:BYTE_0
	v_add_nc_u16 v38, 0xf800, v38
	v_cvt_f16_i16_sdwa v53, sext(v53) dst_sel:DWORD dst_unused:UNUSED_PAD src0_sel:BYTE_0
	v_pack_b32_f16 v51, v51, v53
	v_lshrrev_b32_e32 v53, 8, v38
	v_cvt_f16_i16_sdwa v38, sext(v38) dst_sel:DWORD dst_unused:UNUSED_PAD src0_sel:BYTE_0
	v_pk_mul_f16 v122, v51, v42
	v_cvt_f16_i16_sdwa v53, sext(v53) dst_sel:DWORD dst_unused:UNUSED_PAD src0_sel:BYTE_0
	v_pack_b32_f16 v38, v38, v53
	v_pk_mul_f16 v38, v38, v42
	v_ashrrev_i32_e32 v42, v1, v52
	v_and_b32_e32 v42, 0xf0f0f0f, v42
	v_lshlrev_b16 v51, 8, v42
	v_and_b32_e32 v52, 0xf00, v42
	v_lshrrev_b32_e32 v42, 16, v42
	v_add_nc_u16 v51, 0xf800, v51
	v_or_b32_sdwa v51, v52, v51 dst_sel:DWORD dst_unused:UNUSED_PAD src0_sel:DWORD src1_sel:BYTE_1
	v_lshlrev_b16 v52, 8, v42
	v_and_b32_e32 v42, 0xf00, v42
	v_add_nc_u16 v51, 0xf800, v51
	v_add_nc_u16 v52, 0xf800, v52
	v_or_b32_sdwa v42, v42, v52 dst_sel:DWORD dst_unused:UNUSED_PAD src0_sel:DWORD src1_sel:BYTE_1
	v_lshrrev_b32_e32 v52, 8, v51
	v_cvt_f16_i16_sdwa v51, sext(v51) dst_sel:DWORD dst_unused:UNUSED_PAD src0_sel:BYTE_0
	v_add_nc_u16 v42, 0xf800, v42
	v_cvt_f16_i16_sdwa v52, sext(v52) dst_sel:DWORD dst_unused:UNUSED_PAD src0_sel:BYTE_0
	v_pack_b32_f16 v51, v51, v52
	v_lshrrev_b32_e32 v52, 8, v42
	v_cvt_f16_i16_sdwa v42, sext(v42) dst_sel:DWORD dst_unused:UNUSED_PAD src0_sel:BYTE_0
	v_pk_mul_f16 v123, v51, v50
	v_cvt_f16_i16_sdwa v52, sext(v52) dst_sel:DWORD dst_unused:UNUSED_PAD src0_sel:BYTE_0
	v_pk_fma_f16 v51, v38, v43, v35
	v_pack_b32_f16 v42, v42, v52
	v_pk_fma_f16 v52, v123, v43, v36
	v_pk_mul_f16 v42, v42, v50
	v_pk_fma_f16 v50, v122, v43, v34
	v_pk_fma_f16 v53, v42, v43, v37
	v_mul_u32_u24_sdwa v37, v39, v208 dst_sel:DWORD dst_unused:UNUSED_PAD src0_sel:WORD_1 src1_sel:DWORD
	ds_write_b128 v127, v[50:53]
	v_pk_fma_f16 v35, v38, v37, v47
	v_add_co_u32 v38, vcc_lo, v231, s2
	v_add_co_ci_u32_e64 v39, null, 0, v142, vcc_lo
	v_pk_fma_f16 v34, v122, v37, v46
	v_pk_fma_f16 v36, v123, v37, v48
	;; [unrolled: 1-line block ×3, first 2 shown]
	global_load_dword v42, v[38:39], off
	v_add_co_u32 v38, vcc_lo, v152, s2
	v_add_co_ci_u32_e64 v39, null, 0, v165, vcc_lo
	ds_write_b128 v127, v[34:37] offset:16
	v_mov_b32_e32 v152, v202
	global_load_ushort v43, v[38:39], off
	v_add_co_u32 v38, vcc_lo, v149, s2
	v_add_co_ci_u32_e64 v39, null, 0, v224, vcc_lo
	global_load_dword v46, v[38:39], off
	v_add_co_u32 v38, vcc_lo, v118, s2
	v_add_co_ci_u32_e64 v39, null, 0, v151, vcc_lo
	v_mov_b32_e32 v151, v196
	global_load_ushort v38, v[38:39], off
	v_mov_b32_e32 v193, v151
	s_waitcnt vmcnt(3)
	v_ashrrev_i32_e32 v39, v1, v42
	v_and_b32_e32 v39, 0xf0f0f0f, v39
	s_waitcnt vmcnt(2)
	v_mul_u32_u24_e32 v43, 0x10001, v43
	v_lshlrev_b16 v42, 8, v39
	v_and_b32_e32 v47, 0xf00, v39
	v_lshrrev_b32_e32 v39, 16, v39
	v_add_nc_u16 v42, 0xf800, v42
	v_or_b32_sdwa v42, v47, v42 dst_sel:DWORD dst_unused:UNUSED_PAD src0_sel:DWORD src1_sel:BYTE_1
	v_lshlrev_b16 v47, 8, v39
	v_and_b32_e32 v39, 0xf00, v39
	s_waitcnt vmcnt(0)
	v_mul_u32_u24_e32 v38, 0x10001, v38
	v_add_nc_u16 v42, 0xf800, v42
	v_add_nc_u16 v47, 0xf800, v47
	v_or_b32_sdwa v39, v39, v47 dst_sel:DWORD dst_unused:UNUSED_PAD src0_sel:DWORD src1_sel:BYTE_1
	v_lshrrev_b32_e32 v47, 8, v42
	v_cvt_f16_i16_sdwa v42, sext(v42) dst_sel:DWORD dst_unused:UNUSED_PAD src0_sel:BYTE_0
	v_add_nc_u16 v39, 0xf800, v39
	v_cvt_f16_i16_sdwa v47, sext(v47) dst_sel:DWORD dst_unused:UNUSED_PAD src0_sel:BYTE_0
	v_pack_b32_f16 v42, v42, v47
	v_lshrrev_b32_e32 v47, 8, v39
	v_cvt_f16_i16_sdwa v39, sext(v39) dst_sel:DWORD dst_unused:UNUSED_PAD src0_sel:BYTE_0
	v_pk_mul_f16 v42, v42, v43
	v_cvt_f16_i16_sdwa v47, sext(v47) dst_sel:DWORD dst_unused:UNUSED_PAD src0_sel:BYTE_0
	v_pack_b32_f16 v39, v39, v47
	v_pk_mul_f16 v39, v39, v43
	v_ashrrev_i32_e32 v43, v1, v46
	v_and_b32_e32 v43, 0xf0f0f0f, v43
	v_lshlrev_b16 v46, 8, v43
	v_and_b32_e32 v47, 0xf00, v43
	v_lshrrev_b32_e32 v43, 16, v43
	v_add_nc_u16 v46, 0xf800, v46
	v_or_b32_sdwa v46, v47, v46 dst_sel:DWORD dst_unused:UNUSED_PAD src0_sel:DWORD src1_sel:BYTE_1
	v_lshlrev_b16 v47, 8, v43
	v_and_b32_e32 v43, 0xf00, v43
	v_add_nc_u16 v46, 0xf800, v46
	v_add_nc_u16 v47, 0xf800, v47
	v_or_b32_sdwa v43, v43, v47 dst_sel:DWORD dst_unused:UNUSED_PAD src0_sel:DWORD src1_sel:BYTE_1
	v_lshrrev_b32_e32 v47, 8, v46
	v_cvt_f16_i16_sdwa v46, sext(v46) dst_sel:DWORD dst_unused:UNUSED_PAD src0_sel:BYTE_0
	v_add_nc_u16 v43, 0xf800, v43
	v_cvt_f16_i16_sdwa v47, sext(v47) dst_sel:DWORD dst_unused:UNUSED_PAD src0_sel:BYTE_0
	v_pack_b32_f16 v46, v46, v47
	v_lshrrev_b32_e32 v47, 8, v43
	v_cvt_f16_i16_sdwa v43, sext(v43) dst_sel:DWORD dst_unused:UNUSED_PAD src0_sel:BYTE_0
	v_pk_mul_f16 v122, v46, v38
	v_cvt_f16_i16_sdwa v47, sext(v47) dst_sel:DWORD dst_unused:UNUSED_PAD src0_sel:BYTE_0
	v_pack_b32_f16 v43, v43, v47
	v_pk_mul_f16 v38, v43, v38
	v_mul_u32_u24_sdwa v43, v44, v208 dst_sel:DWORD dst_unused:UNUSED_PAD src0_sel:WORD_0 src1_sel:DWORD
	v_pk_fma_f16 v46, v42, v43, v50
	v_pk_fma_f16 v47, v39, v43, v51
	;; [unrolled: 1-line block ×4, first 2 shown]
	v_mul_u32_u24_sdwa v43, v40, v208 dst_sel:DWORD dst_unused:UNUSED_PAD src0_sel:WORD_0 src1_sel:DWORD
	v_mul_u32_u24_sdwa v40, v40, v208 dst_sel:DWORD dst_unused:UNUSED_PAD src0_sel:WORD_1 src1_sel:DWORD
	ds_write_b128 v127, v[46:49]
	v_pk_fma_f16 v50, v42, v43, v34
	v_add_co_u32 v34, vcc_lo, v7, s2
	v_pk_fma_f16 v51, v39, v43, v35
	v_add_co_ci_u32_e64 v35, null, 0, v8, vcc_lo
	v_pk_fma_f16 v52, v122, v43, v36
	v_pk_fma_f16 v53, v38, v43, v37
	global_load_dword v36, v[34:35], off
	v_add_co_u32 v34, vcc_lo, v9, s2
	v_add_co_ci_u32_e64 v35, null, 0, v160, vcc_lo
	ds_write_b128 v127, v[50:53] offset:16
	v_mov_b32_e32 v160, v80
	v_mov_b32_e32 v9, v6
	global_load_ushort v37, v[34:35], off
	v_add_co_u32 v34, vcc_lo, v181, s2
	v_add_co_ci_u32_e64 v35, null, 0, v232, vcc_lo
	v_mov_b32_e32 v232, v147
	global_load_dword v38, v[34:35], off
	v_add_co_u32 v34, vcc_lo, v159, s2
	v_add_co_ci_u32_e64 v35, null, 0, v2, vcc_lo
	global_load_ushort v34, v[34:35], off
	s_waitcnt vmcnt(3)
	v_ashrrev_i32_e32 v35, v1, v36
	v_and_b32_e32 v35, 0xf0f0f0f, v35
	s_waitcnt vmcnt(2)
	v_mul_u32_u24_e32 v37, 0x10001, v37
	v_lshlrev_b16 v36, 8, v35
	v_and_b32_e32 v39, 0xf00, v35
	v_lshrrev_b32_e32 v35, 16, v35
	v_add_nc_u16 v36, 0xf800, v36
	v_or_b32_sdwa v36, v39, v36 dst_sel:DWORD dst_unused:UNUSED_PAD src0_sel:DWORD src1_sel:BYTE_1
	v_lshlrev_b16 v39, 8, v35
	v_and_b32_e32 v35, 0xf00, v35
	s_waitcnt vmcnt(0)
	v_mul_u32_u24_e32 v34, 0x10001, v34
	v_add_nc_u16 v36, 0xf800, v36
	v_add_nc_u16 v39, 0xf800, v39
	v_or_b32_sdwa v35, v35, v39 dst_sel:DWORD dst_unused:UNUSED_PAD src0_sel:DWORD src1_sel:BYTE_1
	v_lshrrev_b32_e32 v39, 8, v36
	v_cvt_f16_i16_sdwa v36, sext(v36) dst_sel:DWORD dst_unused:UNUSED_PAD src0_sel:BYTE_0
	v_add_nc_u16 v35, 0xf800, v35
	v_cvt_f16_i16_sdwa v39, sext(v39) dst_sel:DWORD dst_unused:UNUSED_PAD src0_sel:BYTE_0
	v_pack_b32_f16 v36, v36, v39
	v_lshrrev_b32_e32 v39, 8, v35
	v_cvt_f16_i16_sdwa v35, sext(v35) dst_sel:DWORD dst_unused:UNUSED_PAD src0_sel:BYTE_0
	v_cvt_f16_i16_sdwa v39, sext(v39) dst_sel:DWORD dst_unused:UNUSED_PAD src0_sel:BYTE_0
	v_pack_b32_f16 v35, v35, v39
	v_pk_mul_f16 v39, v36, v37
	v_pk_mul_f16 v42, v35, v37
	v_ashrrev_i32_e32 v35, v1, v38
	v_and_b32_e32 v35, 0xf0f0f0f, v35
	v_lshlrev_b16 v36, 8, v35
	v_and_b32_e32 v37, 0xf00, v35
	v_lshrrev_b32_e32 v35, 16, v35
	v_add_nc_u16 v36, 0xf800, v36
	v_or_b32_sdwa v36, v37, v36 dst_sel:DWORD dst_unused:UNUSED_PAD src0_sel:DWORD src1_sel:BYTE_1
	v_lshlrev_b16 v37, 8, v35
	v_and_b32_e32 v35, 0xf00, v35
	v_add_nc_u16 v36, 0xf800, v36
	v_add_nc_u16 v37, 0xf800, v37
	v_or_b32_sdwa v35, v35, v37 dst_sel:DWORD dst_unused:UNUSED_PAD src0_sel:DWORD src1_sel:BYTE_1
	v_lshrrev_b32_e32 v37, 8, v36
	v_cvt_f16_i16_sdwa v36, sext(v36) dst_sel:DWORD dst_unused:UNUSED_PAD src0_sel:BYTE_0
	v_add_nc_u16 v35, 0xf800, v35
	v_cvt_f16_i16_sdwa v37, sext(v37) dst_sel:DWORD dst_unused:UNUSED_PAD src0_sel:BYTE_0
	v_pack_b32_f16 v36, v36, v37
	v_lshrrev_b32_e32 v37, 8, v35
	v_cvt_f16_i16_sdwa v35, sext(v35) dst_sel:DWORD dst_unused:UNUSED_PAD src0_sel:BYTE_0
	v_pk_mul_f16 v38, v36, v34
	v_cvt_f16_i16_sdwa v37, sext(v37) dst_sel:DWORD dst_unused:UNUSED_PAD src0_sel:BYTE_0
	v_pack_b32_f16 v35, v35, v37
	v_mul_u32_u24_sdwa v37, v44, v208 dst_sel:DWORD dst_unused:UNUSED_PAD src0_sel:WORD_1 src1_sel:DWORD
	v_pk_mul_f16 v43, v35, v34
	v_pk_fma_f16 v36, v38, v37, v48
	v_pk_fma_f16 v48, v38, v40, v52
	v_add_co_u32 v38, vcc_lo, v250, s2
	v_pk_fma_f16 v34, v39, v37, v46
	v_pk_fma_f16 v46, v39, v40, v50
	v_add_co_ci_u32_e64 v39, null, 0, v233, vcc_lo
	v_pk_fma_f16 v35, v42, v37, v47
	v_pk_fma_f16 v37, v43, v37, v49
	;; [unrolled: 1-line block ×4, first 2 shown]
	global_load_dword v40, v[38:39], off
	v_add_co_u32 v38, vcc_lo, v14, s2
	v_add_co_ci_u32_e64 v39, null, 0, v19, vcc_lo
	ds_write_b128 v127, v[34:37]
	ds_write_b128 v127, v[46:49] offset:16
	global_load_ushort v42, v[38:39], off
	v_add_co_u32 v38, vcc_lo, v22, s2
	v_add_co_ci_u32_e64 v39, null, 0, v69, vcc_lo
	global_load_dword v43, v[38:39], off
	v_add_co_u32 v38, vcc_lo, v147, s2
	v_add_co_ci_u32_e64 v39, null, 0, v132, vcc_lo
	global_load_ushort v38, v[38:39], off
	s_waitcnt vmcnt(3)
	v_ashrrev_i32_e32 v39, v1, v40
	v_and_b32_e32 v39, 0xf0f0f0f, v39
	s_waitcnt vmcnt(2)
	v_mul_u32_u24_e32 v42, 0x10001, v42
	v_lshlrev_b16 v40, 8, v39
	v_and_b32_e32 v44, 0xf00, v39
	v_lshrrev_b32_e32 v39, 16, v39
	v_add_nc_u16 v40, 0xf800, v40
	v_or_b32_sdwa v40, v44, v40 dst_sel:DWORD dst_unused:UNUSED_PAD src0_sel:DWORD src1_sel:BYTE_1
	v_lshlrev_b16 v44, 8, v39
	v_and_b32_e32 v39, 0xf00, v39
	s_waitcnt vmcnt(0)
	v_mul_u32_u24_e32 v38, 0x10001, v38
	v_add_nc_u16 v40, 0xf800, v40
	v_add_nc_u16 v44, 0xf800, v44
	v_or_b32_sdwa v39, v39, v44 dst_sel:DWORD dst_unused:UNUSED_PAD src0_sel:DWORD src1_sel:BYTE_1
	v_lshrrev_b32_e32 v44, 8, v40
	v_cvt_f16_i16_sdwa v40, sext(v40) dst_sel:DWORD dst_unused:UNUSED_PAD src0_sel:BYTE_0
	v_add_nc_u16 v39, 0xf800, v39
	v_cvt_f16_i16_sdwa v44, sext(v44) dst_sel:DWORD dst_unused:UNUSED_PAD src0_sel:BYTE_0
	v_pack_b32_f16 v40, v40, v44
	v_lshrrev_b32_e32 v44, 8, v39
	v_cvt_f16_i16_sdwa v39, sext(v39) dst_sel:DWORD dst_unused:UNUSED_PAD src0_sel:BYTE_0
	v_pk_mul_f16 v40, v40, v42
	v_cvt_f16_i16_sdwa v44, sext(v44) dst_sel:DWORD dst_unused:UNUSED_PAD src0_sel:BYTE_0
	v_pack_b32_f16 v39, v39, v44
	v_pk_mul_f16 v39, v39, v42
	v_ashrrev_i32_e32 v42, v1, v43
	v_and_b32_e32 v42, 0xf0f0f0f, v42
	v_lshlrev_b16 v43, 8, v42
	v_and_b32_e32 v44, 0xf00, v42
	v_lshrrev_b32_e32 v42, 16, v42
	v_add_nc_u16 v43, 0xf800, v43
	v_or_b32_sdwa v43, v44, v43 dst_sel:DWORD dst_unused:UNUSED_PAD src0_sel:DWORD src1_sel:BYTE_1
	v_lshlrev_b16 v44, 8, v42
	v_and_b32_e32 v42, 0xf00, v42
	v_add_nc_u16 v43, 0xf800, v43
	v_add_nc_u16 v44, 0xf800, v44
	v_or_b32_sdwa v42, v42, v44 dst_sel:DWORD dst_unused:UNUSED_PAD src0_sel:DWORD src1_sel:BYTE_1
	v_lshrrev_b32_e32 v44, 8, v43
	v_cvt_f16_i16_sdwa v43, sext(v43) dst_sel:DWORD dst_unused:UNUSED_PAD src0_sel:BYTE_0
	v_add_nc_u16 v42, 0xf800, v42
	v_cvt_f16_i16_sdwa v44, sext(v44) dst_sel:DWORD dst_unused:UNUSED_PAD src0_sel:BYTE_0
	v_pack_b32_f16 v43, v43, v44
	v_lshrrev_b32_e32 v44, 8, v42
	v_cvt_f16_i16_sdwa v42, sext(v42) dst_sel:DWORD dst_unused:UNUSED_PAD src0_sel:BYTE_0
	v_pk_mul_f16 v43, v43, v38
	v_cvt_f16_i16_sdwa v44, sext(v44) dst_sel:DWORD dst_unused:UNUSED_PAD src0_sel:BYTE_0
	v_pack_b32_f16 v42, v42, v44
	v_pk_mul_f16 v38, v42, v38
	v_mul_u32_u24_sdwa v42, v45, v208 dst_sel:DWORD dst_unused:UNUSED_PAD src0_sel:WORD_0 src1_sel:DWORD
	v_pk_fma_f16 v212, v38, v42, v37
	v_mul_u32_u24_sdwa v37, v41, v208 dst_sel:DWORD dst_unused:UNUSED_PAD src0_sel:WORD_0 src1_sel:DWORD
	v_pk_fma_f16 v209, v40, v42, v34
	v_pk_fma_f16 v210, v39, v42, v35
	;; [unrolled: 1-line block ×7, first 2 shown]
	v_add_co_u32 v38, vcc_lo, v169, s2
	v_add_co_ci_u32_e64 v39, null, 0, v66, vcc_lo
	v_mul_u32_u24_sdwa v40, v45, v208 dst_sel:DWORD dst_unused:UNUSED_PAD src0_sel:WORD_1 src1_sel:DWORD
	ds_write_b128 v127, v[34:37] offset:16
	ds_write_b128 v127, v[209:212]
	global_load_dword v42, v[38:39], off
	v_add_co_u32 v38, vcc_lo, v120, s2
	v_add_co_ci_u32_e64 v39, null, 0, v218, vcc_lo
	global_load_ushort v43, v[38:39], off
	v_add_co_u32 v38, vcc_lo, v223, s2
	v_add_co_ci_u32_e64 v39, null, 0, v219, vcc_lo
	global_load_dword v44, v[38:39], off
	v_add_co_u32 v38, vcc_lo, v99, s2
	v_add_co_ci_u32_e64 v39, null, 0, v170, vcc_lo
	global_load_ushort v38, v[38:39], off
	s_waitcnt vmcnt(3)
	v_ashrrev_i32_e32 v39, v1, v42
	v_and_b32_e32 v39, 0xf0f0f0f, v39
	s_waitcnt vmcnt(2)
	v_mul_u32_u24_e32 v43, 0x10001, v43
	v_lshlrev_b16 v42, 8, v39
	v_and_b32_e32 v45, 0xf00, v39
	v_lshrrev_b32_e32 v39, 16, v39
	v_add_nc_u16 v42, 0xf800, v42
	v_or_b32_sdwa v42, v45, v42 dst_sel:DWORD dst_unused:UNUSED_PAD src0_sel:DWORD src1_sel:BYTE_1
	v_lshlrev_b16 v45, 8, v39
	v_and_b32_e32 v39, 0xf00, v39
	s_waitcnt vmcnt(0)
	v_mul_u32_u24_e32 v38, 0x10001, v38
	v_add_nc_u16 v42, 0xf800, v42
	v_add_nc_u16 v45, 0xf800, v45
	v_or_b32_sdwa v39, v39, v45 dst_sel:DWORD dst_unused:UNUSED_PAD src0_sel:DWORD src1_sel:BYTE_1
	v_lshrrev_b32_e32 v45, 8, v42
	v_cvt_f16_i16_sdwa v42, sext(v42) dst_sel:DWORD dst_unused:UNUSED_PAD src0_sel:BYTE_0
	v_add_nc_u16 v39, 0xf800, v39
	v_cvt_f16_i16_sdwa v45, sext(v45) dst_sel:DWORD dst_unused:UNUSED_PAD src0_sel:BYTE_0
	v_pack_b32_f16 v42, v42, v45
	v_lshrrev_b32_e32 v45, 8, v39
	v_cvt_f16_i16_sdwa v39, sext(v39) dst_sel:DWORD dst_unused:UNUSED_PAD src0_sel:BYTE_0
	v_pk_mul_f16 v42, v42, v43
	v_cvt_f16_i16_sdwa v45, sext(v45) dst_sel:DWORD dst_unused:UNUSED_PAD src0_sel:BYTE_0
	v_pk_fma_f16 v50, v42, v40, v209
	v_pack_b32_f16 v39, v39, v45
	v_pk_mul_f16 v39, v39, v43
	v_ashrrev_i32_e32 v43, v1, v44
	v_pk_fma_f16 v51, v39, v40, v210
	v_and_b32_e32 v43, 0xf0f0f0f, v43
	v_lshlrev_b16 v44, 8, v43
	v_and_b32_e32 v45, 0xf00, v43
	v_lshrrev_b32_e32 v43, 16, v43
	v_add_nc_u16 v44, 0xf800, v44
	v_or_b32_sdwa v44, v45, v44 dst_sel:DWORD dst_unused:UNUSED_PAD src0_sel:DWORD src1_sel:BYTE_1
	v_lshlrev_b16 v45, 8, v43
	v_and_b32_e32 v43, 0xf00, v43
	v_add_nc_u16 v44, 0xf800, v44
	v_add_nc_u16 v45, 0xf800, v45
	v_or_b32_sdwa v43, v43, v45 dst_sel:DWORD dst_unused:UNUSED_PAD src0_sel:DWORD src1_sel:BYTE_1
	v_lshrrev_b32_e32 v45, 8, v44
	v_cvt_f16_i16_sdwa v44, sext(v44) dst_sel:DWORD dst_unused:UNUSED_PAD src0_sel:BYTE_0
	v_add_nc_u16 v43, 0xf800, v43
	v_cvt_f16_i16_sdwa v45, sext(v45) dst_sel:DWORD dst_unused:UNUSED_PAD src0_sel:BYTE_0
	v_pack_b32_f16 v44, v44, v45
	v_lshrrev_b32_e32 v45, 8, v43
	v_cvt_f16_i16_sdwa v43, sext(v43) dst_sel:DWORD dst_unused:UNUSED_PAD src0_sel:BYTE_0
	v_pk_mul_f16 v44, v44, v38
	v_cvt_f16_i16_sdwa v45, sext(v45) dst_sel:DWORD dst_unused:UNUSED_PAD src0_sel:BYTE_0
	v_pk_fma_f16 v52, v44, v40, v211
	v_pack_b32_f16 v43, v43, v45
	v_pk_mul_f16 v38, v43, v38
	v_pk_fma_f16 v53, v38, v40, v212
	v_mul_u32_u24_sdwa v40, v41, v208 dst_sel:DWORD dst_unused:UNUSED_PAD src0_sel:WORD_1 src1_sel:DWORD
	v_pk_fma_f16 v46, v42, v40, v34
	v_add_co_u32 v34, vcc_lo, v202, s2
	v_pk_fma_f16 v47, v39, v40, v35
	v_add_co_ci_u32_e64 v35, null, 0, v205, vcc_lo
	v_pk_fma_f16 v48, v44, v40, v36
	v_pk_fma_f16 v49, v38, v40, v37
	v_mov_b32_e32 v202, v203
	global_load_dword v36, v[34:35], off
	v_add_co_u32 v34, vcc_lo, v204, s2
	v_add_co_ci_u32_e64 v35, null, 0, v234, vcc_lo
	v_mov_b32_e32 v204, v30
	global_load_ushort v37, v[34:35], off
	v_add_co_u32 v34, vcc_lo, v203, s2
	v_add_co_ci_u32_e64 v35, null, 0, v180, vcc_lo
	v_mov_b32_e32 v203, v152
	global_load_dword v38, v[34:35], off
	v_add_co_u32 v34, vcc_lo, v179, s2
	v_add_co_ci_u32_e64 v35, null, 0, v206, vcc_lo
	v_mov_b32_e32 v179, v143
	v_mov_b32_e32 v206, v130
	global_load_ushort v34, v[34:35], off
	s_waitcnt vmcnt(3)
	v_ashrrev_i32_e32 v35, v1, v36
	v_and_b32_e32 v35, 0xf0f0f0f, v35
	s_waitcnt vmcnt(2)
	v_mul_u32_u24_e32 v37, 0x10001, v37
	v_lshlrev_b16 v36, 8, v35
	v_and_b32_e32 v39, 0xf00, v35
	v_lshrrev_b32_e32 v35, 16, v35
	v_add_nc_u16 v36, 0xf800, v36
	v_or_b32_sdwa v36, v39, v36 dst_sel:DWORD dst_unused:UNUSED_PAD src0_sel:DWORD src1_sel:BYTE_1
	v_lshlrev_b16 v39, 8, v35
	v_and_b32_e32 v35, 0xf00, v35
	s_waitcnt vmcnt(0)
	v_mul_u32_u24_e32 v34, 0x10001, v34
	v_add_nc_u16 v36, 0xf800, v36
	v_add_nc_u16 v39, 0xf800, v39
	v_or_b32_sdwa v35, v35, v39 dst_sel:DWORD dst_unused:UNUSED_PAD src0_sel:DWORD src1_sel:BYTE_1
	v_lshrrev_b32_e32 v39, 8, v36
	v_cvt_f16_i16_sdwa v36, sext(v36) dst_sel:DWORD dst_unused:UNUSED_PAD src0_sel:BYTE_0
	v_add_nc_u16 v35, 0xf800, v35
	v_cvt_f16_i16_sdwa v39, sext(v39) dst_sel:DWORD dst_unused:UNUSED_PAD src0_sel:BYTE_0
	v_pack_b32_f16 v36, v36, v39
	v_lshrrev_b32_e32 v39, 8, v35
	v_cvt_f16_i16_sdwa v35, sext(v35) dst_sel:DWORD dst_unused:UNUSED_PAD src0_sel:BYTE_0
	v_pk_mul_f16 v209, v36, v37
	v_cvt_f16_i16_sdwa v39, sext(v39) dst_sel:DWORD dst_unused:UNUSED_PAD src0_sel:BYTE_0
	v_pack_b32_f16 v35, v35, v39
	v_pk_mul_f16 v210, v35, v37
	v_ashrrev_i32_e32 v35, v1, v38
	v_and_b32_e32 v35, 0xf0f0f0f, v35
	v_lshlrev_b16 v36, 8, v35
	v_and_b32_e32 v37, 0xf00, v35
	v_lshrrev_b32_e32 v35, 16, v35
	v_add_nc_u16 v36, 0xf800, v36
	v_or_b32_sdwa v36, v37, v36 dst_sel:DWORD dst_unused:UNUSED_PAD src0_sel:DWORD src1_sel:BYTE_1
	v_lshlrev_b16 v37, 8, v35
	v_and_b32_e32 v35, 0xf00, v35
	v_add_nc_u16 v36, 0xf800, v36
	v_add_nc_u16 v37, 0xf800, v37
	v_or_b32_sdwa v35, v35, v37 dst_sel:DWORD dst_unused:UNUSED_PAD src0_sel:DWORD src1_sel:BYTE_1
	v_lshrrev_b32_e32 v37, 8, v36
	v_cvt_f16_i16_sdwa v36, sext(v36) dst_sel:DWORD dst_unused:UNUSED_PAD src0_sel:BYTE_0
	v_add_nc_u16 v35, 0xf800, v35
	v_cvt_f16_i16_sdwa v37, sext(v37) dst_sel:DWORD dst_unused:UNUSED_PAD src0_sel:BYTE_0
	v_pack_b32_f16 v36, v36, v37
	v_lshrrev_b32_e32 v37, 8, v35
	v_cvt_f16_i16_sdwa v35, sext(v35) dst_sel:DWORD dst_unused:UNUSED_PAD src0_sel:BYTE_0
	v_pk_mul_f16 v211, v36, v34
	v_cvt_f16_i16_sdwa v37, sext(v37) dst_sel:DWORD dst_unused:UNUSED_PAD src0_sel:BYTE_0
	v_pack_b32_f16 v35, v35, v37
	v_pk_mul_f16 v212, v35, v34
	ds_read_b128 v[34:37], v0 offset:32
	ds_read_b128 v[42:45], v0 offset:48
	ds_write_b128 v127, v[50:53]
	s_waitcnt lgkmcnt(2)
	v_mul_u32_u24_sdwa v38, v34, v208 dst_sel:DWORD dst_unused:UNUSED_PAD src0_sel:WORD_0 src1_sel:DWORD
	v_mul_u32_u24_sdwa v34, v34, v208 dst_sel:DWORD dst_unused:UNUSED_PAD src0_sel:WORD_1 src1_sel:DWORD
	v_pk_fma_f16 v213, v209, v38, v50
	v_pk_fma_f16 v214, v210, v38, v51
	v_pk_fma_f16 v215, v211, v38, v52
	v_pk_fma_f16 v216, v212, v38, v53
	ds_read_b128 v[50:53], v0 offset:288
	ds_read_b128 v[38:41], v0 offset:304
	ds_write_b128 v127, v[46:49] offset:16
	s_clause 0x7
	buffer_load_dword v235, off, s[96:99], 0 offset:1048
	buffer_load_dword v218, off, s[96:99], 0 offset:1032
	;; [unrolled: 1-line block ×8, first 2 shown]
	ds_write_b128 v127, v[213:216]
	s_clause 0xb
	buffer_load_dword v97, off, s[96:99], 0 offset:1020
	buffer_load_dword v94, off, s[96:99], 0 offset:1012
	;; [unrolled: 1-line block ×11, first 2 shown]
	buffer_load_dword v19, off, s[96:99], 0
	s_waitcnt lgkmcnt(3)
	v_mul_u32_u24_sdwa v122, v50, v208 dst_sel:DWORD dst_unused:UNUSED_PAD src0_sel:WORD_0 src1_sel:DWORD
	s_clause 0x6
	buffer_load_dword v176, off, s[96:99], 0 offset:1060
	buffer_load_dword v14, off, s[96:99], 0 offset:1080
	;; [unrolled: 1-line block ×7, first 2 shown]
	v_pk_fma_f16 v209, v209, v122, v46
	v_add_co_u32 v46, vcc_lo, v199, s2
	v_pk_fma_f16 v210, v210, v122, v47
	v_add_co_ci_u32_e64 v47, null, 0, v200, vcc_lo
	v_pk_fma_f16 v211, v211, v122, v48
	v_pk_fma_f16 v212, v212, v122, v49
	s_clause 0x6
	buffer_load_dword v92, off, s[96:99], 0 offset:1008
	buffer_load_dword v85, off, s[96:99], 0 offset:952
	;; [unrolled: 1-line block ×7, first 2 shown]
	global_load_dword v48, v[46:47], off
	v_add_co_u32 v46, vcc_lo, v143, s2
	v_add_co_ci_u32_e64 v47, null, 0, v136, vcc_lo
	ds_write_b128 v127, v[209:212] offset:16
	v_mov_b32_e32 v143, v126
	s_clause 0x1
	buffer_load_dword v56, off, s[96:99], 0 offset:1088
	buffer_load_dword v81, off, s[96:99], 0 offset:996
	global_load_ushort v49, v[46:47], off
	v_add_co_u32 v46, vcc_lo, v187, s2
	v_add_co_ci_u32_e64 v47, null, 0, v88, vcc_lo
	global_load_dword v122, v[46:47], off
	v_add_co_u32 v46, vcc_lo, v196, s2
	v_add_co_ci_u32_e64 v47, null, 0, v76, vcc_lo
	v_mov_b32_e32 v196, v88
	buffer_load_dword v88, off, s[96:99], 0 offset:968 ; 4-byte Folded Reload
	global_load_ushort v46, v[46:47], off
	s_waitcnt vmcnt(38)
	v_mov_b32_e32 v170, v10
	s_waitcnt vmcnt(16)
	v_mov_b32_e32 v80, v0
	s_waitcnt vmcnt(6)
	v_ashrrev_i32_e32 v47, v1, v48
	v_and_b32_e32 v47, 0xf0f0f0f, v47
	s_waitcnt vmcnt(3)
	v_mul_u32_u24_e32 v49, 0x10001, v49
	v_lshlrev_b16 v48, 8, v47
	v_and_b32_e32 v123, 0xf00, v47
	v_lshrrev_b32_e32 v47, 16, v47
	v_add_nc_u16 v48, 0xf800, v48
	v_or_b32_sdwa v48, v123, v48 dst_sel:DWORD dst_unused:UNUSED_PAD src0_sel:DWORD src1_sel:BYTE_1
	v_lshlrev_b16 v123, 8, v47
	v_and_b32_e32 v47, 0xf00, v47
	v_add_nc_u16 v48, 0xf800, v48
	v_add_nc_u16 v123, 0xf800, v123
	s_waitcnt vmcnt(0)
	v_mul_u32_u24_e32 v46, 0x10001, v46
	v_or_b32_sdwa v47, v47, v123 dst_sel:DWORD dst_unused:UNUSED_PAD src0_sel:DWORD src1_sel:BYTE_1
	v_lshrrev_b32_e32 v123, 8, v48
	v_cvt_f16_i16_sdwa v48, sext(v48) dst_sel:DWORD dst_unused:UNUSED_PAD src0_sel:BYTE_0
	v_add_nc_u16 v47, 0xf800, v47
	v_cvt_f16_i16_sdwa v123, sext(v123) dst_sel:DWORD dst_unused:UNUSED_PAD src0_sel:BYTE_0
	v_pack_b32_f16 v48, v48, v123
	v_lshrrev_b32_e32 v123, 8, v47
	v_cvt_f16_i16_sdwa v47, sext(v47) dst_sel:DWORD dst_unused:UNUSED_PAD src0_sel:BYTE_0
	v_cvt_f16_i16_sdwa v123, sext(v123) dst_sel:DWORD dst_unused:UNUSED_PAD src0_sel:BYTE_0
	v_pack_b32_f16 v47, v47, v123
	v_pk_mul_f16 v123, v48, v49
	v_pk_mul_f16 v124, v47, v49
	v_ashrrev_i32_e32 v47, v1, v122
	v_and_b32_e32 v47, 0xf0f0f0f, v47
	v_lshlrev_b16 v48, 8, v47
	v_and_b32_e32 v49, 0xf00, v47
	v_lshrrev_b32_e32 v47, 16, v47
	v_add_nc_u16 v48, 0xf800, v48
	v_or_b32_sdwa v48, v49, v48 dst_sel:DWORD dst_unused:UNUSED_PAD src0_sel:DWORD src1_sel:BYTE_1
	v_lshlrev_b16 v49, 8, v47
	v_and_b32_e32 v47, 0xf00, v47
	v_add_nc_u16 v48, 0xf800, v48
	v_add_nc_u16 v49, 0xf800, v49
	v_or_b32_sdwa v47, v47, v49 dst_sel:DWORD dst_unused:UNUSED_PAD src0_sel:DWORD src1_sel:BYTE_1
	v_lshrrev_b32_e32 v49, 8, v48
	v_cvt_f16_i16_sdwa v48, sext(v48) dst_sel:DWORD dst_unused:UNUSED_PAD src0_sel:BYTE_0
	v_add_nc_u16 v47, 0xf800, v47
	v_cvt_f16_i16_sdwa v49, sext(v49) dst_sel:DWORD dst_unused:UNUSED_PAD src0_sel:BYTE_0
	v_pack_b32_f16 v48, v48, v49
	v_lshrrev_b32_e32 v49, 8, v47
	v_cvt_f16_i16_sdwa v47, sext(v47) dst_sel:DWORD dst_unused:UNUSED_PAD src0_sel:BYTE_0
	v_pk_mul_f16 v122, v48, v46
	v_cvt_f16_i16_sdwa v49, sext(v49) dst_sel:DWORD dst_unused:UNUSED_PAD src0_sel:BYTE_0
	v_pk_fma_f16 v48, v122, v34, v215
	v_pack_b32_f16 v47, v47, v49
	v_pk_mul_f16 v128, v47, v46
	v_pk_fma_f16 v46, v123, v34, v213
	v_pk_fma_f16 v47, v124, v34, v214
	;; [unrolled: 1-line block ×3, first 2 shown]
	v_mul_u32_u24_sdwa v34, v50, v208 dst_sel:DWORD dst_unused:UNUSED_PAD src0_sel:WORD_1 src1_sel:DWORD
	ds_write_b128 v127, v[46:49]
	v_pk_fma_f16 v213, v123, v34, v209
	v_add_co_u32 v209, vcc_lo, v191, s2
	v_pk_fma_f16 v214, v124, v34, v210
	v_add_co_ci_u32_e64 v210, null, 0, v194, vcc_lo
	v_pk_fma_f16 v215, v122, v34, v211
	v_pk_fma_f16 v216, v128, v34, v212
	global_load_dword v34, v[209:210], off
	v_add_co_u32 v209, vcc_lo, v198, s2
	v_add_co_ci_u32_e64 v210, null, 0, v183, vcc_lo
	ds_write_b128 v127, v[213:216] offset:16
	global_load_ushort v50, v[209:210], off
	v_add_co_u32 v209, vcc_lo, v188, s2
	v_add_co_ci_u32_e64 v210, null, 0, v186, vcc_lo
	global_load_dword v122, v[209:210], off
	v_add_co_u32 v209, vcc_lo, v184, s2
	v_add_co_ci_u32_e64 v210, null, 0, v192, vcc_lo
	global_load_ushort v123, v[209:210], off
	s_waitcnt vmcnt(3)
	v_ashrrev_i32_e32 v34, v1, v34
	v_and_b32_e32 v34, 0xf0f0f0f, v34
	s_waitcnt vmcnt(2)
	v_mul_u32_u24_e32 v50, 0x10001, v50
	v_lshlrev_b16 v124, 8, v34
	v_and_b32_e32 v128, 0xf00, v34
	v_lshrrev_b32_e32 v34, 16, v34
	v_add_nc_u16 v124, 0xf800, v124
	v_or_b32_sdwa v124, v128, v124 dst_sel:DWORD dst_unused:UNUSED_PAD src0_sel:DWORD src1_sel:BYTE_1
	v_lshlrev_b16 v128, 8, v34
	v_and_b32_e32 v34, 0xf00, v34
	s_waitcnt vmcnt(0)
	v_mul_u32_u24_e32 v123, 0x10001, v123
	v_add_nc_u16 v124, 0xf800, v124
	v_add_nc_u16 v128, 0xf800, v128
	v_or_b32_sdwa v34, v34, v128 dst_sel:DWORD dst_unused:UNUSED_PAD src0_sel:DWORD src1_sel:BYTE_1
	v_lshrrev_b32_e32 v128, 8, v124
	v_cvt_f16_i16_sdwa v124, sext(v124) dst_sel:DWORD dst_unused:UNUSED_PAD src0_sel:BYTE_0
	v_add_nc_u16 v34, 0xf800, v34
	v_cvt_f16_i16_sdwa v128, sext(v128) dst_sel:DWORD dst_unused:UNUSED_PAD src0_sel:BYTE_0
	v_pack_b32_f16 v124, v124, v128
	v_lshrrev_b32_e32 v128, 8, v34
	v_cvt_f16_i16_sdwa v34, sext(v34) dst_sel:DWORD dst_unused:UNUSED_PAD src0_sel:BYTE_0
	v_pk_mul_f16 v124, v124, v50
	v_cvt_f16_i16_sdwa v128, sext(v128) dst_sel:DWORD dst_unused:UNUSED_PAD src0_sel:BYTE_0
	v_pack_b32_f16 v34, v34, v128
	v_pk_mul_f16 v34, v34, v50
	v_ashrrev_i32_e32 v50, v1, v122
	v_and_b32_e32 v50, 0xf0f0f0f, v50
	v_lshlrev_b16 v122, 8, v50
	v_and_b32_e32 v128, 0xf00, v50
	v_lshrrev_b32_e32 v50, 16, v50
	v_add_nc_u16 v122, 0xf800, v122
	v_or_b32_sdwa v122, v128, v122 dst_sel:DWORD dst_unused:UNUSED_PAD src0_sel:DWORD src1_sel:BYTE_1
	v_lshlrev_b16 v128, 8, v50
	v_and_b32_e32 v50, 0xf00, v50
	v_add_nc_u16 v122, 0xf800, v122
	v_add_nc_u16 v128, 0xf800, v128
	v_or_b32_sdwa v50, v50, v128 dst_sel:DWORD dst_unused:UNUSED_PAD src0_sel:DWORD src1_sel:BYTE_1
	v_lshrrev_b32_e32 v128, 8, v122
	v_cvt_f16_i16_sdwa v122, sext(v122) dst_sel:DWORD dst_unused:UNUSED_PAD src0_sel:BYTE_0
	v_add_nc_u16 v50, 0xf800, v50
	v_cvt_f16_i16_sdwa v128, sext(v128) dst_sel:DWORD dst_unused:UNUSED_PAD src0_sel:BYTE_0
	v_pack_b32_f16 v122, v122, v128
	v_lshrrev_b32_e32 v128, 8, v50
	v_cvt_f16_i16_sdwa v50, sext(v50) dst_sel:DWORD dst_unused:UNUSED_PAD src0_sel:BYTE_0
	v_pk_mul_f16 v122, v122, v123
	v_cvt_f16_i16_sdwa v128, sext(v128) dst_sel:DWORD dst_unused:UNUSED_PAD src0_sel:BYTE_0
	v_pack_b32_f16 v50, v50, v128
	v_pk_mul_f16 v50, v50, v123
	v_mul_u32_u24_sdwa v123, v35, v208 dst_sel:DWORD dst_unused:UNUSED_PAD src0_sel:WORD_0 src1_sel:DWORD
	v_mul_u32_u24_sdwa v35, v35, v208 dst_sel:DWORD dst_unused:UNUSED_PAD src0_sel:WORD_1 src1_sel:DWORD
	v_pk_fma_f16 v212, v50, v123, v49
	v_mul_u32_u24_sdwa v49, v51, v208 dst_sel:DWORD dst_unused:UNUSED_PAD src0_sel:WORD_0 src1_sel:DWORD
	v_pk_fma_f16 v209, v124, v123, v46
	v_pk_fma_f16 v210, v34, v123, v47
	;; [unrolled: 1-line block ×4, first 2 shown]
	v_add_co_u32 v213, vcc_lo, v129, s2
	v_pk_fma_f16 v47, v34, v49, v214
	v_add_co_ci_u32_e64 v214, null, 0, v171, vcc_lo
	v_pk_fma_f16 v48, v122, v49, v215
	v_pk_fma_f16 v49, v50, v49, v216
	ds_write_b128 v127, v[209:212]
	global_load_dword v34, v[213:214], off
	v_add_co_u32 v213, vcc_lo, v190, s2
	v_add_co_ci_u32_e64 v214, null, 0, v173, vcc_lo
	ds_write_b128 v127, v[46:49] offset:16
	global_load_ushort v50, v[213:214], off
	v_add_co_u32 v213, vcc_lo, v242, s2
	v_add_co_ci_u32_e64 v214, null, 0, v246, vcc_lo
	global_load_dword v122, v[213:214], off
	v_add_co_u32 v213, vcc_lo, v240, s2
	v_add_co_ci_u32_e64 v214, null, 0, v133, vcc_lo
	global_load_ushort v123, v[213:214], off
	s_waitcnt vmcnt(3)
	v_ashrrev_i32_e32 v34, v1, v34
	v_and_b32_e32 v34, 0xf0f0f0f, v34
	s_waitcnt vmcnt(2)
	v_mul_u32_u24_e32 v50, 0x10001, v50
	v_lshlrev_b16 v124, 8, v34
	v_and_b32_e32 v128, 0xf00, v34
	v_lshrrev_b32_e32 v34, 16, v34
	v_add_nc_u16 v124, 0xf800, v124
	v_or_b32_sdwa v124, v128, v124 dst_sel:DWORD dst_unused:UNUSED_PAD src0_sel:DWORD src1_sel:BYTE_1
	v_lshlrev_b16 v128, 8, v34
	v_and_b32_e32 v34, 0xf00, v34
	s_waitcnt vmcnt(0)
	v_mul_u32_u24_e32 v123, 0x10001, v123
	v_add_nc_u16 v124, 0xf800, v124
	v_add_nc_u16 v128, 0xf800, v128
	v_or_b32_sdwa v34, v34, v128 dst_sel:DWORD dst_unused:UNUSED_PAD src0_sel:DWORD src1_sel:BYTE_1
	v_lshrrev_b32_e32 v128, 8, v124
	v_cvt_f16_i16_sdwa v124, sext(v124) dst_sel:DWORD dst_unused:UNUSED_PAD src0_sel:BYTE_0
	v_add_nc_u16 v34, 0xf800, v34
	v_cvt_f16_i16_sdwa v128, sext(v128) dst_sel:DWORD dst_unused:UNUSED_PAD src0_sel:BYTE_0
	v_pack_b32_f16 v124, v124, v128
	v_lshrrev_b32_e32 v128, 8, v34
	v_cvt_f16_i16_sdwa v34, sext(v34) dst_sel:DWORD dst_unused:UNUSED_PAD src0_sel:BYTE_0
	v_pk_mul_f16 v124, v124, v50
	v_cvt_f16_i16_sdwa v128, sext(v128) dst_sel:DWORD dst_unused:UNUSED_PAD src0_sel:BYTE_0
	v_pk_fma_f16 v213, v124, v35, v209
	v_pack_b32_f16 v34, v34, v128
	v_pk_mul_f16 v34, v34, v50
	v_ashrrev_i32_e32 v50, v1, v122
	v_pk_fma_f16 v214, v34, v35, v210
	v_and_b32_e32 v50, 0xf0f0f0f, v50
	v_lshlrev_b16 v122, 8, v50
	v_and_b32_e32 v128, 0xf00, v50
	v_lshrrev_b32_e32 v50, 16, v50
	v_add_nc_u16 v122, 0xf800, v122
	v_or_b32_sdwa v122, v128, v122 dst_sel:DWORD dst_unused:UNUSED_PAD src0_sel:DWORD src1_sel:BYTE_1
	v_lshlrev_b16 v128, 8, v50
	v_and_b32_e32 v50, 0xf00, v50
	v_add_nc_u16 v122, 0xf800, v122
	v_add_nc_u16 v128, 0xf800, v128
	v_or_b32_sdwa v50, v50, v128 dst_sel:DWORD dst_unused:UNUSED_PAD src0_sel:DWORD src1_sel:BYTE_1
	v_lshrrev_b32_e32 v128, 8, v122
	v_cvt_f16_i16_sdwa v122, sext(v122) dst_sel:DWORD dst_unused:UNUSED_PAD src0_sel:BYTE_0
	v_add_nc_u16 v50, 0xf800, v50
	v_cvt_f16_i16_sdwa v128, sext(v128) dst_sel:DWORD dst_unused:UNUSED_PAD src0_sel:BYTE_0
	v_pack_b32_f16 v122, v122, v128
	v_lshrrev_b32_e32 v128, 8, v50
	v_cvt_f16_i16_sdwa v50, sext(v50) dst_sel:DWORD dst_unused:UNUSED_PAD src0_sel:BYTE_0
	v_pk_mul_f16 v122, v122, v123
	v_cvt_f16_i16_sdwa v128, sext(v128) dst_sel:DWORD dst_unused:UNUSED_PAD src0_sel:BYTE_0
	v_pk_fma_f16 v215, v122, v35, v211
	v_pack_b32_f16 v50, v50, v128
	v_pk_mul_f16 v50, v50, v123
	v_pk_fma_f16 v216, v50, v35, v212
	v_mul_u32_u24_sdwa v35, v51, v208 dst_sel:DWORD dst_unused:UNUSED_PAD src0_sel:WORD_1 src1_sel:DWORD
	ds_write_b128 v127, v[213:216]
	v_pk_fma_f16 v210, v34, v35, v47
	v_add_co_u32 v34, vcc_lo, v145, s2
	v_pk_fma_f16 v209, v124, v35, v46
	v_pk_fma_f16 v211, v122, v35, v48
	;; [unrolled: 1-line block ×3, first 2 shown]
	v_add_co_ci_u32_e64 v35, null, 0, v161, vcc_lo
	v_mul_u32_u24_sdwa v122, v52, v208 dst_sel:DWORD dst_unused:UNUSED_PAD src0_sel:WORD_0 src1_sel:DWORD
	v_mov_b32_e32 v161, v157
	ds_write_b128 v127, v[209:212] offset:16
	global_load_dword v46, v[34:35], off
	v_add_co_u32 v34, vcc_lo, v251, s2
	v_add_co_ci_u32_e64 v35, null, 0, v248, vcc_lo
	global_load_ushort v47, v[34:35], off
	v_add_co_u32 v34, vcc_lo, v254, s2
	v_add_co_ci_u32_e64 v35, null, 0, v249, vcc_lo
	global_load_dword v48, v[34:35], off
	v_add_co_u32 v34, vcc_lo, v115, s2
	v_add_co_ci_u32_e64 v35, null, 0, v157, vcc_lo
	v_mov_b32_e32 v157, v144
	v_mov_b32_e32 v115, v145
	;; [unrolled: 1-line block ×3, first 2 shown]
	global_load_ushort v34, v[34:35], off
	s_waitcnt vmcnt(3)
	v_ashrrev_i32_e32 v35, v1, v46
	v_and_b32_e32 v35, 0xf0f0f0f, v35
	s_waitcnt vmcnt(2)
	v_mul_u32_u24_e32 v47, 0x10001, v47
	v_lshlrev_b16 v46, 8, v35
	v_and_b32_e32 v49, 0xf00, v35
	v_lshrrev_b32_e32 v35, 16, v35
	v_add_nc_u16 v46, 0xf800, v46
	v_or_b32_sdwa v46, v49, v46 dst_sel:DWORD dst_unused:UNUSED_PAD src0_sel:DWORD src1_sel:BYTE_1
	v_lshlrev_b16 v49, 8, v35
	v_and_b32_e32 v35, 0xf00, v35
	s_waitcnt vmcnt(0)
	v_mul_u32_u24_e32 v34, 0x10001, v34
	v_add_nc_u16 v46, 0xf800, v46
	v_add_nc_u16 v49, 0xf800, v49
	v_or_b32_sdwa v35, v35, v49 dst_sel:DWORD dst_unused:UNUSED_PAD src0_sel:DWORD src1_sel:BYTE_1
	v_lshrrev_b32_e32 v49, 8, v46
	v_cvt_f16_i16_sdwa v46, sext(v46) dst_sel:DWORD dst_unused:UNUSED_PAD src0_sel:BYTE_0
	v_add_nc_u16 v35, 0xf800, v35
	v_cvt_f16_i16_sdwa v49, sext(v49) dst_sel:DWORD dst_unused:UNUSED_PAD src0_sel:BYTE_0
	v_pack_b32_f16 v46, v46, v49
	v_lshrrev_b32_e32 v49, 8, v35
	v_cvt_f16_i16_sdwa v35, sext(v35) dst_sel:DWORD dst_unused:UNUSED_PAD src0_sel:BYTE_0
	v_pk_mul_f16 v50, v46, v47
	v_cvt_f16_i16_sdwa v49, sext(v49) dst_sel:DWORD dst_unused:UNUSED_PAD src0_sel:BYTE_0
	v_ashrrev_i32_e32 v46, v1, v48
	v_pack_b32_f16 v35, v35, v49
	v_and_b32_e32 v46, 0xf0f0f0f, v46
	v_mul_u32_u24_sdwa v49, v36, v208 dst_sel:DWORD dst_unused:UNUSED_PAD src0_sel:WORD_0 src1_sel:DWORD
	v_mul_u32_u24_sdwa v36, v36, v208 dst_sel:DWORD dst_unused:UNUSED_PAD src0_sel:WORD_1 src1_sel:DWORD
	v_pk_mul_f16 v35, v35, v47
	v_lshlrev_b16 v47, 8, v46
	v_and_b32_e32 v48, 0xf00, v46
	v_lshrrev_b32_e32 v46, 16, v46
	v_add_nc_u16 v47, 0xf800, v47
	v_or_b32_sdwa v47, v48, v47 dst_sel:DWORD dst_unused:UNUSED_PAD src0_sel:DWORD src1_sel:BYTE_1
	v_lshlrev_b16 v48, 8, v46
	v_and_b32_e32 v46, 0xf00, v46
	v_add_nc_u16 v47, 0xf800, v47
	v_add_nc_u16 v48, 0xf800, v48
	v_or_b32_sdwa v46, v46, v48 dst_sel:DWORD dst_unused:UNUSED_PAD src0_sel:DWORD src1_sel:BYTE_1
	v_lshrrev_b32_e32 v48, 8, v47
	v_cvt_f16_i16_sdwa v47, sext(v47) dst_sel:DWORD dst_unused:UNUSED_PAD src0_sel:BYTE_0
	v_add_nc_u16 v46, 0xf800, v46
	v_cvt_f16_i16_sdwa v48, sext(v48) dst_sel:DWORD dst_unused:UNUSED_PAD src0_sel:BYTE_0
	v_pack_b32_f16 v47, v47, v48
	v_lshrrev_b32_e32 v48, 8, v46
	v_cvt_f16_i16_sdwa v46, sext(v46) dst_sel:DWORD dst_unused:UNUSED_PAD src0_sel:BYTE_0
	v_pk_mul_f16 v51, v47, v34
	v_cvt_f16_i16_sdwa v48, sext(v48) dst_sel:DWORD dst_unused:UNUSED_PAD src0_sel:BYTE_0
	v_pk_fma_f16 v47, v35, v49, v214
	v_pk_fma_f16 v214, v35, v122, v210
	v_pack_b32_f16 v46, v46, v48
	v_pk_fma_f16 v48, v51, v49, v215
	v_pk_fma_f16 v215, v51, v122, v211
	v_pk_mul_f16 v34, v46, v34
	v_pk_fma_f16 v46, v50, v49, v213
	v_pk_fma_f16 v213, v50, v122, v209
	;; [unrolled: 1-line block ×4, first 2 shown]
	v_add_co_u32 v34, vcc_lo, v243, s2
	v_add_co_ci_u32_e64 v35, null, 0, v247, vcc_lo
	ds_write_b128 v127, v[46:49]
	ds_write_b128 v127, v[213:216] offset:16
	global_load_dword v50, v[34:35], off
	v_add_co_u32 v34, vcc_lo, v252, s2
	v_add_co_ci_u32_e64 v35, null, 0, v253, vcc_lo
	global_load_ushort v51, v[34:35], off
	v_add_co_u32 v34, vcc_lo, v236, s2
	v_add_co_ci_u32_e64 v35, null, 0, v238, vcc_lo
	global_load_dword v122, v[34:35], off
	v_add_co_u32 v34, vcc_lo, v239, s2
	v_add_co_ci_u32_e64 v35, null, 0, v241, vcc_lo
	global_load_ushort v34, v[34:35], off
	s_waitcnt vmcnt(3)
	v_ashrrev_i32_e32 v35, v1, v50
	v_and_b32_e32 v35, 0xf0f0f0f, v35
	s_waitcnt vmcnt(2)
	v_mul_u32_u24_e32 v51, 0x10001, v51
	v_lshlrev_b16 v50, 8, v35
	v_and_b32_e32 v123, 0xf00, v35
	v_lshrrev_b32_e32 v35, 16, v35
	v_add_nc_u16 v50, 0xf800, v50
	v_or_b32_sdwa v50, v123, v50 dst_sel:DWORD dst_unused:UNUSED_PAD src0_sel:DWORD src1_sel:BYTE_1
	v_lshlrev_b16 v123, 8, v35
	v_and_b32_e32 v35, 0xf00, v35
	s_waitcnt vmcnt(0)
	v_mul_u32_u24_e32 v34, 0x10001, v34
	v_add_nc_u16 v50, 0xf800, v50
	v_add_nc_u16 v123, 0xf800, v123
	v_or_b32_sdwa v35, v35, v123 dst_sel:DWORD dst_unused:UNUSED_PAD src0_sel:DWORD src1_sel:BYTE_1
	v_lshrrev_b32_e32 v123, 8, v50
	v_cvt_f16_i16_sdwa v50, sext(v50) dst_sel:DWORD dst_unused:UNUSED_PAD src0_sel:BYTE_0
	v_add_nc_u16 v35, 0xf800, v35
	v_cvt_f16_i16_sdwa v123, sext(v123) dst_sel:DWORD dst_unused:UNUSED_PAD src0_sel:BYTE_0
	v_pack_b32_f16 v50, v50, v123
	v_lshrrev_b32_e32 v123, 8, v35
	v_cvt_f16_i16_sdwa v35, sext(v35) dst_sel:DWORD dst_unused:UNUSED_PAD src0_sel:BYTE_0
	v_pk_mul_f16 v50, v50, v51
	v_cvt_f16_i16_sdwa v123, sext(v123) dst_sel:DWORD dst_unused:UNUSED_PAD src0_sel:BYTE_0
	v_pk_fma_f16 v209, v50, v36, v46
	v_pack_b32_f16 v35, v35, v123
	v_pk_mul_f16 v35, v35, v51
	v_ashrrev_i32_e32 v51, v1, v122
	v_pk_fma_f16 v210, v35, v36, v47
	v_and_b32_e32 v51, 0xf0f0f0f, v51
	v_lshlrev_b16 v122, 8, v51
	v_and_b32_e32 v123, 0xf00, v51
	v_lshrrev_b32_e32 v51, 16, v51
	v_add_nc_u16 v122, 0xf800, v122
	v_or_b32_sdwa v122, v123, v122 dst_sel:DWORD dst_unused:UNUSED_PAD src0_sel:DWORD src1_sel:BYTE_1
	v_lshlrev_b16 v123, 8, v51
	v_and_b32_e32 v51, 0xf00, v51
	v_add_nc_u16 v122, 0xf800, v122
	v_add_nc_u16 v123, 0xf800, v123
	v_or_b32_sdwa v51, v51, v123 dst_sel:DWORD dst_unused:UNUSED_PAD src0_sel:DWORD src1_sel:BYTE_1
	v_lshrrev_b32_e32 v123, 8, v122
	v_cvt_f16_i16_sdwa v122, sext(v122) dst_sel:DWORD dst_unused:UNUSED_PAD src0_sel:BYTE_0
	v_add_nc_u16 v51, 0xf800, v51
	v_cvt_f16_i16_sdwa v123, sext(v123) dst_sel:DWORD dst_unused:UNUSED_PAD src0_sel:BYTE_0
	v_pack_b32_f16 v122, v122, v123
	v_lshrrev_b32_e32 v123, 8, v51
	v_cvt_f16_i16_sdwa v51, sext(v51) dst_sel:DWORD dst_unused:UNUSED_PAD src0_sel:BYTE_0
	v_pk_mul_f16 v122, v122, v34
	v_cvt_f16_i16_sdwa v123, sext(v123) dst_sel:DWORD dst_unused:UNUSED_PAD src0_sel:BYTE_0
	v_pk_fma_f16 v211, v122, v36, v48
	v_pack_b32_f16 v51, v51, v123
	v_pk_mul_f16 v34, v51, v34
	v_pk_fma_f16 v212, v34, v36, v49
	v_mul_u32_u24_sdwa v36, v52, v208 dst_sel:DWORD dst_unused:UNUSED_PAD src0_sel:WORD_1 src1_sel:DWORD
	ds_write_b128 v127, v[209:212]
	v_pk_fma_f16 v49, v34, v36, v216
	v_add_co_u32 v34, vcc_lo, v141, s2
	v_pk_fma_f16 v47, v35, v36, v214
	v_add_co_ci_u32_e64 v35, null, 0, v144, vcc_lo
	v_pk_fma_f16 v46, v50, v36, v213
	v_pk_fma_f16 v48, v122, v36, v215
	v_mov_b32_e32 v144, v140
	global_load_dword v36, v[34:35], off
	v_add_co_u32 v34, vcc_lo, v235, s2
	v_add_co_ci_u32_e64 v35, null, 0, v218, vcc_lo
	v_mov_b32_e32 v141, v139
	ds_write_b128 v127, v[46:49] offset:16
	global_load_ushort v50, v[34:35], off
	v_add_co_u32 v34, vcc_lo, v139, s2
	v_add_co_ci_u32_e64 v35, null, 0, v140, vcc_lo
	v_mov_b32_e32 v140, v138
	v_mov_b32_e32 v139, v134
	global_load_dword v51, v[34:35], off
	v_add_co_u32 v34, vcc_lo, v197, s2
	v_add_co_ci_u32_e64 v35, null, 0, v130, vcc_lo
	v_mov_b32_e32 v130, v117
	global_load_ushort v34, v[34:35], off
	s_waitcnt vmcnt(3)
	v_ashrrev_i32_e32 v35, v1, v36
	v_and_b32_e32 v35, 0xf0f0f0f, v35
	s_waitcnt vmcnt(2)
	v_mul_u32_u24_e32 v50, 0x10001, v50
	v_lshlrev_b16 v36, 8, v35
	v_and_b32_e32 v52, 0xf00, v35
	v_lshrrev_b32_e32 v35, 16, v35
	v_add_nc_u16 v36, 0xf800, v36
	v_or_b32_sdwa v36, v52, v36 dst_sel:DWORD dst_unused:UNUSED_PAD src0_sel:DWORD src1_sel:BYTE_1
	v_lshlrev_b16 v52, 8, v35
	v_and_b32_e32 v35, 0xf00, v35
	s_waitcnt vmcnt(0)
	v_mul_u32_u24_e32 v34, 0x10001, v34
	v_add_nc_u16 v36, 0xf800, v36
	v_add_nc_u16 v52, 0xf800, v52
	v_or_b32_sdwa v35, v35, v52 dst_sel:DWORD dst_unused:UNUSED_PAD src0_sel:DWORD src1_sel:BYTE_1
	v_lshrrev_b32_e32 v52, 8, v36
	v_cvt_f16_i16_sdwa v36, sext(v36) dst_sel:DWORD dst_unused:UNUSED_PAD src0_sel:BYTE_0
	v_add_nc_u16 v35, 0xf800, v35
	v_cvt_f16_i16_sdwa v52, sext(v52) dst_sel:DWORD dst_unused:UNUSED_PAD src0_sel:BYTE_0
	v_pack_b32_f16 v36, v36, v52
	v_lshrrev_b32_e32 v52, 8, v35
	v_cvt_f16_i16_sdwa v35, sext(v35) dst_sel:DWORD dst_unused:UNUSED_PAD src0_sel:BYTE_0
	v_pk_mul_f16 v36, v36, v50
	v_cvt_f16_i16_sdwa v52, sext(v52) dst_sel:DWORD dst_unused:UNUSED_PAD src0_sel:BYTE_0
	v_pack_b32_f16 v35, v35, v52
	v_pk_mul_f16 v35, v35, v50
	v_ashrrev_i32_e32 v50, v1, v51
	v_and_b32_e32 v50, 0xf0f0f0f, v50
	v_lshlrev_b16 v51, 8, v50
	v_and_b32_e32 v52, 0xf00, v50
	v_lshrrev_b32_e32 v50, 16, v50
	v_add_nc_u16 v51, 0xf800, v51
	v_or_b32_sdwa v51, v52, v51 dst_sel:DWORD dst_unused:UNUSED_PAD src0_sel:DWORD src1_sel:BYTE_1
	v_lshlrev_b16 v52, 8, v50
	v_and_b32_e32 v50, 0xf00, v50
	v_add_nc_u16 v51, 0xf800, v51
	v_add_nc_u16 v52, 0xf800, v52
	v_or_b32_sdwa v50, v50, v52 dst_sel:DWORD dst_unused:UNUSED_PAD src0_sel:DWORD src1_sel:BYTE_1
	v_lshrrev_b32_e32 v52, 8, v51
	v_cvt_f16_i16_sdwa v51, sext(v51) dst_sel:DWORD dst_unused:UNUSED_PAD src0_sel:BYTE_0
	v_add_nc_u16 v50, 0xf800, v50
	v_cvt_f16_i16_sdwa v52, sext(v52) dst_sel:DWORD dst_unused:UNUSED_PAD src0_sel:BYTE_0
	v_pack_b32_f16 v51, v51, v52
	v_lshrrev_b32_e32 v52, 8, v50
	v_cvt_f16_i16_sdwa v50, sext(v50) dst_sel:DWORD dst_unused:UNUSED_PAD src0_sel:BYTE_0
	v_pk_mul_f16 v51, v51, v34
	v_cvt_f16_i16_sdwa v52, sext(v52) dst_sel:DWORD dst_unused:UNUSED_PAD src0_sel:BYTE_0
	v_pack_b32_f16 v50, v50, v52
	v_mul_u32_u24_sdwa v52, v53, v208 dst_sel:DWORD dst_unused:UNUSED_PAD src0_sel:WORD_1 src1_sel:DWORD
	v_pk_mul_f16 v34, v50, v34
	v_mul_u32_u24_sdwa v50, v37, v208 dst_sel:DWORD dst_unused:UNUSED_PAD src0_sel:WORD_0 src1_sel:DWORD
	v_mul_u32_u24_sdwa v37, v37, v208 dst_sel:DWORD dst_unused:UNUSED_PAD src0_sel:WORD_1 src1_sel:DWORD
	v_pk_fma_f16 v213, v36, v50, v209
	v_pk_fma_f16 v214, v35, v50, v210
	;; [unrolled: 1-line block ×4, first 2 shown]
	v_mul_u32_u24_sdwa v50, v53, v208 dst_sel:DWORD dst_unused:UNUSED_PAD src0_sel:WORD_0 src1_sel:DWORD
	ds_write_b128 v127, v[213:216]
	v_pk_fma_f16 v212, v34, v50, v49
	v_add_co_u32 v34, vcc_lo, v10, s2
	v_pk_fma_f16 v210, v35, v50, v47
	v_add_co_ci_u32_e64 v35, null, 0, v230, vcc_lo
	v_pk_fma_f16 v209, v36, v50, v46
	buffer_load_dword v230, off, s[96:99], 0 offset:912 ; 4-byte Folded Reload
	v_pk_fma_f16 v211, v51, v50, v48
	global_load_dword v36, v[34:35], off
	v_add_co_u32 v34, vcc_lo, v134, s2
	v_add_co_ci_u32_e64 v35, null, 0, v138, vcc_lo
	s_clause 0x1
	buffer_load_dword v138, off, s[96:99], 0 offset:944
	buffer_load_dword v134, off, s[96:99], 0 offset:940
	ds_write_b128 v127, v[209:212] offset:16
	global_load_ushort v46, v[34:35], off
	s_waitcnt vmcnt(2)
	v_add_co_u32 v34, vcc_lo, v138, s2
	s_waitcnt vmcnt(1)
	v_add_co_ci_u32_e64 v35, null, 0, v134, vcc_lo
	s_waitcnt vmcnt(0)
	v_mul_u32_u24_e32 v46, 0x10001, v46
	global_load_dword v47, v[34:35], off
	v_add_co_u32 v34, vcc_lo, v225, s2
	v_add_co_ci_u32_e64 v35, null, 0, v166, vcc_lo
	global_load_ushort v34, v[34:35], off
	v_ashrrev_i32_e32 v35, v1, v36
	v_and_b32_e32 v35, 0xf0f0f0f, v35
	v_lshlrev_b16 v36, 8, v35
	v_and_b32_e32 v48, 0xf00, v35
	v_lshrrev_b32_e32 v35, 16, v35
	v_add_nc_u16 v36, 0xf800, v36
	v_or_b32_sdwa v36, v48, v36 dst_sel:DWORD dst_unused:UNUSED_PAD src0_sel:DWORD src1_sel:BYTE_1
	v_lshlrev_b16 v48, 8, v35
	v_and_b32_e32 v35, 0xf00, v35
	v_add_nc_u16 v36, 0xf800, v36
	v_add_nc_u16 v48, 0xf800, v48
	v_or_b32_sdwa v35, v35, v48 dst_sel:DWORD dst_unused:UNUSED_PAD src0_sel:DWORD src1_sel:BYTE_1
	v_lshrrev_b32_e32 v48, 8, v36
	v_cvt_f16_i16_sdwa v36, sext(v36) dst_sel:DWORD dst_unused:UNUSED_PAD src0_sel:BYTE_0
	v_add_nc_u16 v35, 0xf800, v35
	v_cvt_f16_i16_sdwa v48, sext(v48) dst_sel:DWORD dst_unused:UNUSED_PAD src0_sel:BYTE_0
	v_pack_b32_f16 v36, v36, v48
	v_lshrrev_b32_e32 v48, 8, v35
	v_cvt_f16_i16_sdwa v35, sext(v35) dst_sel:DWORD dst_unused:UNUSED_PAD src0_sel:BYTE_0
	v_cvt_f16_i16_sdwa v48, sext(v48) dst_sel:DWORD dst_unused:UNUSED_PAD src0_sel:BYTE_0
	v_pack_b32_f16 v35, v35, v48
	v_pk_mul_f16 v48, v36, v46
	v_pk_mul_f16 v49, v35, v46
	s_waitcnt vmcnt(1)
	v_ashrrev_i32_e32 v35, v1, v47
	v_pk_fma_f16 v47, v49, v52, v210
	v_mov_b32_e32 v210, v23
	v_and_b32_e32 v35, 0xf0f0f0f, v35
	s_waitcnt vmcnt(0)
	v_mul_u32_u24_e32 v34, 0x10001, v34
	v_lshlrev_b16 v36, 8, v35
	v_and_b32_e32 v46, 0xf00, v35
	v_lshrrev_b32_e32 v35, 16, v35
	v_add_nc_u16 v36, 0xf800, v36
	v_or_b32_sdwa v36, v46, v36 dst_sel:DWORD dst_unused:UNUSED_PAD src0_sel:DWORD src1_sel:BYTE_1
	v_lshlrev_b16 v46, 8, v35
	v_and_b32_e32 v35, 0xf00, v35
	v_add_nc_u16 v36, 0xf800, v36
	v_add_nc_u16 v46, 0xf800, v46
	v_or_b32_sdwa v35, v35, v46 dst_sel:DWORD dst_unused:UNUSED_PAD src0_sel:DWORD src1_sel:BYTE_1
	v_lshrrev_b32_e32 v46, 8, v36
	v_cvt_f16_i16_sdwa v36, sext(v36) dst_sel:DWORD dst_unused:UNUSED_PAD src0_sel:BYTE_0
	v_add_nc_u16 v35, 0xf800, v35
	v_cvt_f16_i16_sdwa v46, sext(v46) dst_sel:DWORD dst_unused:UNUSED_PAD src0_sel:BYTE_0
	v_pack_b32_f16 v36, v36, v46
	v_lshrrev_b32_e32 v46, 8, v35
	v_cvt_f16_i16_sdwa v35, sext(v35) dst_sel:DWORD dst_unused:UNUSED_PAD src0_sel:BYTE_0
	v_pk_mul_f16 v50, v36, v34
	v_cvt_f16_i16_sdwa v46, sext(v46) dst_sel:DWORD dst_unused:UNUSED_PAD src0_sel:BYTE_0
	v_pk_fma_f16 v36, v50, v37, v215
	v_pack_b32_f16 v35, v35, v46
	v_pk_fma_f16 v46, v48, v52, v209
	v_mov_b32_e32 v209, v234
	v_mov_b32_e32 v215, v13
	;; [unrolled: 1-line block ×3, first 2 shown]
	v_pk_mul_f16 v51, v35, v34
	v_pk_fma_f16 v34, v48, v37, v213
	v_pk_fma_f16 v48, v50, v52, v211
	v_add_co_u32 v50, vcc_lo, v201, s2
	v_pk_fma_f16 v35, v49, v37, v214
	v_pk_fma_f16 v37, v51, v37, v216
	;; [unrolled: 1-line block ×3, first 2 shown]
	v_add_co_ci_u32_e64 v51, null, 0, v126, vcc_lo
	v_mov_b32_e32 v126, v112
	ds_write_b128 v127, v[34:37]
	ds_write_b128 v127, v[46:49] offset:16
	global_load_dword v52, v[50:51], off
	v_add_co_u32 v50, vcc_lo, v18, s2
	v_add_co_ci_u32_e64 v51, null, 0, v20, vcc_lo
	v_mov_b32_e32 v216, v66
	v_mov_b32_e32 v213, v32
	;; [unrolled: 1-line block ×3, first 2 shown]
	global_load_ushort v53, v[50:51], off
	v_add_co_u32 v50, vcc_lo, v113, s2
	v_add_co_ci_u32_e64 v51, null, 0, v117, vcc_lo
	v_mov_b32_e32 v117, v113
	v_mov_b32_e32 v113, v110
	v_mov_b32_e32 v212, v17
	global_load_dword v122, v[50:51], off
	v_add_co_u32 v50, vcc_lo, v176, s2
	v_add_co_ci_u32_e64 v51, null, 0, v19, vcc_lo
	v_mov_b32_e32 v17, v15
	v_mov_b32_e32 v13, v11
	;; [unrolled: 1-line block ×3, first 2 shown]
	global_load_ushort v50, v[50:51], off
	s_waitcnt vmcnt(3)
	v_ashrrev_i32_e32 v51, v1, v52
	v_and_b32_e32 v51, 0xf0f0f0f, v51
	s_waitcnt vmcnt(2)
	v_mul_u32_u24_e32 v53, 0x10001, v53
	v_lshlrev_b16 v52, 8, v51
	v_and_b32_e32 v123, 0xf00, v51
	v_lshrrev_b32_e32 v51, 16, v51
	v_add_nc_u16 v52, 0xf800, v52
	v_or_b32_sdwa v52, v123, v52 dst_sel:DWORD dst_unused:UNUSED_PAD src0_sel:DWORD src1_sel:BYTE_1
	v_lshlrev_b16 v123, 8, v51
	v_and_b32_e32 v51, 0xf00, v51
	s_waitcnt vmcnt(0)
	v_mul_u32_u24_e32 v50, 0x10001, v50
	v_add_nc_u16 v52, 0xf800, v52
	v_add_nc_u16 v123, 0xf800, v123
	v_or_b32_sdwa v51, v51, v123 dst_sel:DWORD dst_unused:UNUSED_PAD src0_sel:DWORD src1_sel:BYTE_1
	v_lshrrev_b32_e32 v123, 8, v52
	v_cvt_f16_i16_sdwa v52, sext(v52) dst_sel:DWORD dst_unused:UNUSED_PAD src0_sel:BYTE_0
	v_add_nc_u16 v51, 0xf800, v51
	v_cvt_f16_i16_sdwa v123, sext(v123) dst_sel:DWORD dst_unused:UNUSED_PAD src0_sel:BYTE_0
	v_pack_b32_f16 v52, v52, v123
	v_lshrrev_b32_e32 v123, 8, v51
	v_cvt_f16_i16_sdwa v51, sext(v51) dst_sel:DWORD dst_unused:UNUSED_PAD src0_sel:BYTE_0
	v_cvt_f16_i16_sdwa v123, sext(v123) dst_sel:DWORD dst_unused:UNUSED_PAD src0_sel:BYTE_0
	v_pack_b32_f16 v51, v51, v123
	v_pk_mul_f16 v123, v52, v53
	v_pk_mul_f16 v124, v51, v53
	v_ashrrev_i32_e32 v51, v1, v122
	v_and_b32_e32 v51, 0xf0f0f0f, v51
	v_lshlrev_b16 v52, 8, v51
	v_and_b32_e32 v53, 0xf00, v51
	v_lshrrev_b32_e32 v51, 16, v51
	v_add_nc_u16 v52, 0xf800, v52
	v_or_b32_sdwa v52, v53, v52 dst_sel:DWORD dst_unused:UNUSED_PAD src0_sel:DWORD src1_sel:BYTE_1
	v_lshlrev_b16 v53, 8, v51
	v_and_b32_e32 v51, 0xf00, v51
	v_add_nc_u16 v52, 0xf800, v52
	v_add_nc_u16 v53, 0xf800, v53
	v_or_b32_sdwa v51, v51, v53 dst_sel:DWORD dst_unused:UNUSED_PAD src0_sel:DWORD src1_sel:BYTE_1
	v_lshrrev_b32_e32 v53, 8, v52
	v_cvt_f16_i16_sdwa v52, sext(v52) dst_sel:DWORD dst_unused:UNUSED_PAD src0_sel:BYTE_0
	v_add_nc_u16 v51, 0xf800, v51
	v_cvt_f16_i16_sdwa v53, sext(v53) dst_sel:DWORD dst_unused:UNUSED_PAD src0_sel:BYTE_0
	v_pack_b32_f16 v52, v52, v53
	v_lshrrev_b32_e32 v53, 8, v51
	v_cvt_f16_i16_sdwa v51, sext(v51) dst_sel:DWORD dst_unused:UNUSED_PAD src0_sel:BYTE_0
	v_pk_mul_f16 v122, v52, v50
	v_cvt_f16_i16_sdwa v53, sext(v53) dst_sel:DWORD dst_unused:UNUSED_PAD src0_sel:BYTE_0
	v_pack_b32_f16 v51, v51, v53
	v_mul_u32_u24_sdwa v53, v42, v208 dst_sel:DWORD dst_unused:UNUSED_PAD src0_sel:WORD_0 src1_sel:DWORD
	v_mul_u32_u24_sdwa v42, v42, v208 dst_sel:DWORD dst_unused:UNUSED_PAD src0_sel:WORD_1 src1_sel:DWORD
	v_pk_mul_f16 v128, v51, v50
	v_pk_fma_f16 v50, v123, v53, v34
	v_pk_fma_f16 v51, v124, v53, v35
	;; [unrolled: 1-line block ×4, first 2 shown]
	s_waitcnt lgkmcnt(17)
	v_mul_u32_u24_sdwa v37, v38, v208 dst_sel:DWORD dst_unused:UNUSED_PAD src0_sel:WORD_0 src1_sel:DWORD
	v_mul_u32_u24_sdwa v38, v38, v208 dst_sel:DWORD dst_unused:UNUSED_PAD src0_sel:WORD_1 src1_sel:DWORD
	ds_write_b128 v127, v[50:53]
	v_pk_fma_f16 v34, v123, v37, v46
	v_add_co_u32 v46, vcc_lo, v109, s2
	v_pk_fma_f16 v35, v124, v37, v47
	v_add_co_ci_u32_e64 v47, null, 0, v110, vcc_lo
	v_pk_fma_f16 v36, v122, v37, v48
	v_pk_fma_f16 v37, v128, v37, v49
	v_mov_b32_e32 v110, v108
	global_load_dword v48, v[46:47], off
	v_add_co_u32 v46, vcc_lo, v131, s2
	v_add_co_ci_u32_e64 v47, null, 0, v112, vcc_lo
	ds_write_b128 v127, v[34:37] offset:16
	v_mov_b32_e32 v112, v109
	v_mov_b32_e32 v109, v107
	global_load_ushort v49, v[46:47], off
	v_add_co_u32 v46, vcc_lo, v107, s2
	v_add_co_ci_u32_e64 v47, null, 0, v108, vcc_lo
	v_mov_b32_e32 v107, v105
	v_mov_b32_e32 v108, v106
	global_load_dword v122, v[46:47], off
	v_add_co_u32 v46, vcc_lo, v185, s2
	v_add_co_ci_u32_e64 v47, null, 0, v116, vcc_lo
	global_load_ushort v46, v[46:47], off
	s_waitcnt vmcnt(3)
	v_ashrrev_i32_e32 v47, v1, v48
	v_and_b32_e32 v47, 0xf0f0f0f, v47
	s_waitcnt vmcnt(2)
	v_mul_u32_u24_e32 v49, 0x10001, v49
	v_lshlrev_b16 v48, 8, v47
	v_and_b32_e32 v123, 0xf00, v47
	v_lshrrev_b32_e32 v47, 16, v47
	v_add_nc_u16 v48, 0xf800, v48
	v_or_b32_sdwa v48, v123, v48 dst_sel:DWORD dst_unused:UNUSED_PAD src0_sel:DWORD src1_sel:BYTE_1
	v_lshlrev_b16 v123, 8, v47
	v_and_b32_e32 v47, 0xf00, v47
	s_waitcnt vmcnt(0)
	v_mul_u32_u24_e32 v46, 0x10001, v46
	v_add_nc_u16 v48, 0xf800, v48
	v_add_nc_u16 v123, 0xf800, v123
	v_or_b32_sdwa v47, v47, v123 dst_sel:DWORD dst_unused:UNUSED_PAD src0_sel:DWORD src1_sel:BYTE_1
	v_lshrrev_b32_e32 v123, 8, v48
	v_cvt_f16_i16_sdwa v48, sext(v48) dst_sel:DWORD dst_unused:UNUSED_PAD src0_sel:BYTE_0
	v_add_nc_u16 v47, 0xf800, v47
	v_cvt_f16_i16_sdwa v123, sext(v123) dst_sel:DWORD dst_unused:UNUSED_PAD src0_sel:BYTE_0
	v_pack_b32_f16 v48, v48, v123
	v_lshrrev_b32_e32 v123, 8, v47
	v_cvt_f16_i16_sdwa v47, sext(v47) dst_sel:DWORD dst_unused:UNUSED_PAD src0_sel:BYTE_0
	v_cvt_f16_i16_sdwa v123, sext(v123) dst_sel:DWORD dst_unused:UNUSED_PAD src0_sel:BYTE_0
	v_pack_b32_f16 v47, v47, v123
	v_pk_mul_f16 v123, v48, v49
	v_pk_mul_f16 v124, v47, v49
	v_ashrrev_i32_e32 v47, v1, v122
	v_and_b32_e32 v47, 0xf0f0f0f, v47
	v_lshlrev_b16 v48, 8, v47
	v_and_b32_e32 v49, 0xf00, v47
	v_lshrrev_b32_e32 v47, 16, v47
	v_add_nc_u16 v48, 0xf800, v48
	v_or_b32_sdwa v48, v49, v48 dst_sel:DWORD dst_unused:UNUSED_PAD src0_sel:DWORD src1_sel:BYTE_1
	v_lshlrev_b16 v49, 8, v47
	v_and_b32_e32 v47, 0xf00, v47
	v_add_nc_u16 v48, 0xf800, v48
	v_add_nc_u16 v49, 0xf800, v49
	v_or_b32_sdwa v47, v47, v49 dst_sel:DWORD dst_unused:UNUSED_PAD src0_sel:DWORD src1_sel:BYTE_1
	v_lshrrev_b32_e32 v49, 8, v48
	v_cvt_f16_i16_sdwa v48, sext(v48) dst_sel:DWORD dst_unused:UNUSED_PAD src0_sel:BYTE_0
	v_add_nc_u16 v47, 0xf800, v47
	v_cvt_f16_i16_sdwa v49, sext(v49) dst_sel:DWORD dst_unused:UNUSED_PAD src0_sel:BYTE_0
	v_pack_b32_f16 v48, v48, v49
	v_lshrrev_b32_e32 v49, 8, v47
	v_cvt_f16_i16_sdwa v47, sext(v47) dst_sel:DWORD dst_unused:UNUSED_PAD src0_sel:BYTE_0
	v_pk_mul_f16 v122, v48, v46
	v_cvt_f16_i16_sdwa v49, sext(v49) dst_sel:DWORD dst_unused:UNUSED_PAD src0_sel:BYTE_0
	v_pk_fma_f16 v48, v122, v42, v52
	v_pack_b32_f16 v47, v47, v49
	v_pk_fma_f16 v52, v122, v38, v36
	v_pk_mul_f16 v128, v47, v46
	v_pk_fma_f16 v46, v123, v42, v50
	v_pk_fma_f16 v50, v123, v38, v34
	v_add_co_u32 v34, vcc_lo, v105, s2
	v_pk_fma_f16 v47, v124, v42, v51
	v_pk_fma_f16 v51, v124, v38, v35
	v_add_co_ci_u32_e64 v35, null, 0, v106, vcc_lo
	v_pk_fma_f16 v49, v128, v42, v53
	v_pk_fma_f16 v53, v128, v38, v37
	buffer_load_dword v124, off, s[96:99], 0 offset:960 ; 4-byte Folded Reload
	global_load_dword v36, v[34:35], off
	v_add_co_u32 v34, vcc_lo, v226, s2
	v_add_co_ci_u32_e64 v35, null, 0, v169, vcc_lo
	ds_write_b128 v127, v[46:49]
	ds_write_b128 v127, v[50:53] offset:16
	v_mov_b32_e32 v105, v103
	global_load_ushort v37, v[34:35], off
	v_add_co_u32 v34, vcc_lo, v103, s2
	v_add_co_ci_u32_e64 v35, null, 0, v104, vcc_lo
	v_mov_b32_e32 v103, v101
	buffer_load_dword v128, off, s[96:99], 0 offset:1076 ; 4-byte Folded Reload
	v_mov_b32_e32 v106, v104
	global_load_dword v38, v[34:35], off
	v_add_co_u32 v34, vcc_lo, v177, s2
	v_add_co_ci_u32_e64 v35, null, 0, v114, vcc_lo
	buffer_load_dword v177, off, s[96:99], 0 offset:876 ; 4-byte Folded Reload
	v_mov_b32_e32 v114, v79
	v_mov_b32_e32 v104, v102
	global_load_ushort v34, v[34:35], off
	s_waitcnt vmcnt(5)
	v_ashrrev_i32_e32 v35, v1, v36
	v_and_b32_e32 v35, 0xf0f0f0f, v35
	s_waitcnt vmcnt(4)
	v_mul_u32_u24_e32 v37, 0x10001, v37
	v_lshlrev_b16 v36, 8, v35
	v_and_b32_e32 v42, 0xf00, v35
	v_lshrrev_b32_e32 v35, 16, v35
	v_add_nc_u16 v36, 0xf800, v36
	v_or_b32_sdwa v36, v42, v36 dst_sel:DWORD dst_unused:UNUSED_PAD src0_sel:DWORD src1_sel:BYTE_1
	v_lshlrev_b16 v42, 8, v35
	v_and_b32_e32 v35, 0xf00, v35
	s_waitcnt vmcnt(0)
	v_mul_u32_u24_e32 v34, 0x10001, v34
	v_add_nc_u16 v36, 0xf800, v36
	v_add_nc_u16 v42, 0xf800, v42
	v_or_b32_sdwa v35, v35, v42 dst_sel:DWORD dst_unused:UNUSED_PAD src0_sel:DWORD src1_sel:BYTE_1
	v_lshrrev_b32_e32 v42, 8, v36
	v_cvt_f16_i16_sdwa v36, sext(v36) dst_sel:DWORD dst_unused:UNUSED_PAD src0_sel:BYTE_0
	v_add_nc_u16 v35, 0xf800, v35
	v_cvt_f16_i16_sdwa v42, sext(v42) dst_sel:DWORD dst_unused:UNUSED_PAD src0_sel:BYTE_0
	v_pack_b32_f16 v36, v36, v42
	v_lshrrev_b32_e32 v42, 8, v35
	v_cvt_f16_i16_sdwa v35, sext(v35) dst_sel:DWORD dst_unused:UNUSED_PAD src0_sel:BYTE_0
	v_cvt_f16_i16_sdwa v42, sext(v42) dst_sel:DWORD dst_unused:UNUSED_PAD src0_sel:BYTE_0
	v_pack_b32_f16 v35, v35, v42
	v_pk_mul_f16 v42, v36, v37
	v_pk_mul_f16 v122, v35, v37
	v_ashrrev_i32_e32 v35, v1, v38
	v_and_b32_e32 v35, 0xf0f0f0f, v35
	v_lshlrev_b16 v36, 8, v35
	v_and_b32_e32 v37, 0xf00, v35
	v_lshrrev_b32_e32 v35, 16, v35
	v_add_nc_u16 v36, 0xf800, v36
	v_or_b32_sdwa v36, v37, v36 dst_sel:DWORD dst_unused:UNUSED_PAD src0_sel:DWORD src1_sel:BYTE_1
	v_lshlrev_b16 v37, 8, v35
	v_and_b32_e32 v35, 0xf00, v35
	v_add_nc_u16 v36, 0xf800, v36
	v_add_nc_u16 v37, 0xf800, v37
	v_or_b32_sdwa v35, v35, v37 dst_sel:DWORD dst_unused:UNUSED_PAD src0_sel:DWORD src1_sel:BYTE_1
	v_lshrrev_b32_e32 v37, 8, v36
	v_cvt_f16_i16_sdwa v36, sext(v36) dst_sel:DWORD dst_unused:UNUSED_PAD src0_sel:BYTE_0
	v_add_nc_u16 v35, 0xf800, v35
	v_cvt_f16_i16_sdwa v37, sext(v37) dst_sel:DWORD dst_unused:UNUSED_PAD src0_sel:BYTE_0
	v_pack_b32_f16 v36, v36, v37
	v_lshrrev_b32_e32 v37, 8, v35
	v_cvt_f16_i16_sdwa v35, sext(v35) dst_sel:DWORD dst_unused:UNUSED_PAD src0_sel:BYTE_0
	v_pk_mul_f16 v38, v36, v34
	v_cvt_f16_i16_sdwa v37, sext(v37) dst_sel:DWORD dst_unused:UNUSED_PAD src0_sel:BYTE_0
	v_pack_b32_f16 v35, v35, v37
	v_mul_u32_u24_sdwa v37, v43, v208 dst_sel:DWORD dst_unused:UNUSED_PAD src0_sel:WORD_0 src1_sel:DWORD
	v_mul_u32_u24_sdwa v43, v43, v208 dst_sel:DWORD dst_unused:UNUSED_PAD src0_sel:WORD_1 src1_sel:DWORD
	v_pk_mul_f16 v123, v35, v34
	v_pk_fma_f16 v34, v42, v37, v46
	v_pk_fma_f16 v35, v122, v37, v47
	;; [unrolled: 1-line block ×4, first 2 shown]
	v_mul_u32_u24_sdwa v49, v39, v208 dst_sel:DWORD dst_unused:UNUSED_PAD src0_sel:WORD_0 src1_sel:DWORD
	ds_write_b128 v127, v[34:37]
	v_pk_fma_f16 v46, v42, v49, v50
	v_add_co_u32 v50, vcc_lo, v14, s2
	v_pk_fma_f16 v47, v122, v49, v51
	v_add_co_ci_u32_e64 v51, null, 0, v101, vcc_lo
	v_pk_fma_f16 v48, v38, v49, v52
	v_pk_fma_f16 v49, v123, v49, v53
	v_mov_b32_e32 v101, v100
	global_load_dword v38, v[50:51], off
	v_add_co_u32 v50, vcc_lo, v177, s2
	v_add_co_ci_u32_e64 v51, null, 0, v102, vcc_lo
	ds_write_b128 v127, v[46:49] offset:16
	v_mov_b32_e32 v102, v14
	global_load_ushort v42, v[50:51], off
	v_add_co_u32 v50, vcc_lo, v99, s2
	v_add_co_ci_u32_e64 v51, null, 0, v98, vcc_lo
	global_load_dword v52, v[50:51], off
	v_add_co_u32 v50, vcc_lo, v79, s2
	v_add_co_ci_u32_e64 v51, null, 0, v100, vcc_lo
	buffer_load_dword v79, off, s[96:99], 0 offset:948 ; 4-byte Folded Reload
	v_mov_b32_e32 v100, v98
	v_mov_b32_e32 v98, v96
	global_load_ushort v50, v[50:51], off
	s_waitcnt vmcnt(4)
	v_ashrrev_i32_e32 v38, v1, v38
	v_and_b32_e32 v38, 0xf0f0f0f, v38
	s_waitcnt vmcnt(3)
	v_mul_u32_u24_e32 v42, 0x10001, v42
	v_lshlrev_b16 v51, 8, v38
	v_and_b32_e32 v53, 0xf00, v38
	v_lshrrev_b32_e32 v38, 16, v38
	v_add_nc_u16 v51, 0xf800, v51
	v_or_b32_sdwa v51, v53, v51 dst_sel:DWORD dst_unused:UNUSED_PAD src0_sel:DWORD src1_sel:BYTE_1
	v_lshlrev_b16 v53, 8, v38
	v_and_b32_e32 v38, 0xf00, v38
	s_waitcnt vmcnt(0)
	v_mul_u32_u24_e32 v50, 0x10001, v50
	v_add_nc_u16 v51, 0xf800, v51
	v_add_nc_u16 v53, 0xf800, v53
	v_or_b32_sdwa v38, v38, v53 dst_sel:DWORD dst_unused:UNUSED_PAD src0_sel:DWORD src1_sel:BYTE_1
	v_lshrrev_b32_e32 v53, 8, v51
	v_cvt_f16_i16_sdwa v51, sext(v51) dst_sel:DWORD dst_unused:UNUSED_PAD src0_sel:BYTE_0
	v_add_nc_u16 v38, 0xf800, v38
	v_cvt_f16_i16_sdwa v53, sext(v53) dst_sel:DWORD dst_unused:UNUSED_PAD src0_sel:BYTE_0
	v_pack_b32_f16 v51, v51, v53
	v_lshrrev_b32_e32 v53, 8, v38
	v_cvt_f16_i16_sdwa v38, sext(v38) dst_sel:DWORD dst_unused:UNUSED_PAD src0_sel:BYTE_0
	v_pk_mul_f16 v122, v51, v42
	v_cvt_f16_i16_sdwa v53, sext(v53) dst_sel:DWORD dst_unused:UNUSED_PAD src0_sel:BYTE_0
	v_pack_b32_f16 v38, v38, v53
	v_pk_mul_f16 v38, v38, v42
	v_ashrrev_i32_e32 v42, v1, v52
	v_and_b32_e32 v42, 0xf0f0f0f, v42
	v_lshlrev_b16 v51, 8, v42
	v_and_b32_e32 v52, 0xf00, v42
	v_lshrrev_b32_e32 v42, 16, v42
	v_add_nc_u16 v51, 0xf800, v51
	v_or_b32_sdwa v51, v52, v51 dst_sel:DWORD dst_unused:UNUSED_PAD src0_sel:DWORD src1_sel:BYTE_1
	v_lshlrev_b16 v52, 8, v42
	v_and_b32_e32 v42, 0xf00, v42
	v_add_nc_u16 v51, 0xf800, v51
	v_add_nc_u16 v52, 0xf800, v52
	v_or_b32_sdwa v42, v42, v52 dst_sel:DWORD dst_unused:UNUSED_PAD src0_sel:DWORD src1_sel:BYTE_1
	v_lshrrev_b32_e32 v52, 8, v51
	v_cvt_f16_i16_sdwa v51, sext(v51) dst_sel:DWORD dst_unused:UNUSED_PAD src0_sel:BYTE_0
	v_add_nc_u16 v42, 0xf800, v42
	v_cvt_f16_i16_sdwa v52, sext(v52) dst_sel:DWORD dst_unused:UNUSED_PAD src0_sel:BYTE_0
	v_pack_b32_f16 v51, v51, v52
	v_lshrrev_b32_e32 v52, 8, v42
	v_cvt_f16_i16_sdwa v42, sext(v42) dst_sel:DWORD dst_unused:UNUSED_PAD src0_sel:BYTE_0
	v_pk_mul_f16 v123, v51, v50
	v_cvt_f16_i16_sdwa v52, sext(v52) dst_sel:DWORD dst_unused:UNUSED_PAD src0_sel:BYTE_0
	v_pk_fma_f16 v51, v38, v43, v35
	v_pack_b32_f16 v42, v42, v52
	v_pk_fma_f16 v52, v123, v43, v36
	v_pk_mul_f16 v42, v42, v50
	v_pk_fma_f16 v50, v122, v43, v34
	v_pk_fma_f16 v53, v42, v43, v37
	v_mul_u32_u24_sdwa v37, v39, v208 dst_sel:DWORD dst_unused:UNUSED_PAD src0_sel:WORD_1 src1_sel:DWORD
	ds_write_b128 v127, v[50:53]
	v_pk_fma_f16 v35, v38, v37, v47
	v_add_co_u32 v38, vcc_lo, v93, s2
	v_add_co_ci_u32_e64 v39, null, 0, v97, vcc_lo
	v_pk_fma_f16 v34, v122, v37, v46
	v_pk_fma_f16 v36, v123, v37, v48
	;; [unrolled: 1-line block ×3, first 2 shown]
	global_load_dword v42, v[38:39], off
	v_add_co_u32 v38, vcc_lo, v245, s2
	v_add_co_ci_u32_e64 v39, null, 0, v96, vcc_lo
	ds_write_b128 v127, v[34:37] offset:16
	v_mov_b32_e32 v96, v93
	v_mov_b32_e32 v93, v91
	global_load_ushort v43, v[38:39], off
	v_add_co_u32 v38, vcc_lo, v91, s2
	v_add_co_ci_u32_e64 v39, null, 0, v94, vcc_lo
	v_mov_b32_e32 v91, v87
	v_mov_b32_e32 v123, v133
	;; [unrolled: 1-line block ×3, first 2 shown]
	global_load_dword v46, v[38:39], off
	v_add_co_u32 v38, vcc_lo, v230, s2
	v_add_co_ci_u32_e64 v39, null, 0, v95, vcc_lo
	v_mov_b32_e32 v171, v173
	v_mov_b32_e32 v173, v186
	;; [unrolled: 1-line block ×3, first 2 shown]
	global_load_ushort v38, v[38:39], off
	v_mov_b32_e32 v192, v194
	v_mov_b32_e32 v194, v76
	;; [unrolled: 1-line block ×5, first 2 shown]
	s_waitcnt vmcnt(3)
	v_ashrrev_i32_e32 v39, v1, v42
	v_and_b32_e32 v39, 0xf0f0f0f, v39
	s_waitcnt vmcnt(2)
	v_mul_u32_u24_e32 v43, 0x10001, v43
	v_lshlrev_b16 v42, 8, v39
	v_and_b32_e32 v47, 0xf00, v39
	v_lshrrev_b32_e32 v39, 16, v39
	v_add_nc_u16 v42, 0xf800, v42
	v_or_b32_sdwa v42, v47, v42 dst_sel:DWORD dst_unused:UNUSED_PAD src0_sel:DWORD src1_sel:BYTE_1
	v_lshlrev_b16 v47, 8, v39
	v_and_b32_e32 v39, 0xf00, v39
	s_waitcnt vmcnt(0)
	v_mul_u32_u24_e32 v38, 0x10001, v38
	v_add_nc_u16 v42, 0xf800, v42
	v_add_nc_u16 v47, 0xf800, v47
	v_or_b32_sdwa v39, v39, v47 dst_sel:DWORD dst_unused:UNUSED_PAD src0_sel:DWORD src1_sel:BYTE_1
	v_lshrrev_b32_e32 v47, 8, v42
	v_cvt_f16_i16_sdwa v42, sext(v42) dst_sel:DWORD dst_unused:UNUSED_PAD src0_sel:BYTE_0
	v_add_nc_u16 v39, 0xf800, v39
	v_cvt_f16_i16_sdwa v47, sext(v47) dst_sel:DWORD dst_unused:UNUSED_PAD src0_sel:BYTE_0
	v_pack_b32_f16 v42, v42, v47
	v_lshrrev_b32_e32 v47, 8, v39
	v_cvt_f16_i16_sdwa v39, sext(v39) dst_sel:DWORD dst_unused:UNUSED_PAD src0_sel:BYTE_0
	v_pk_mul_f16 v42, v42, v43
	v_cvt_f16_i16_sdwa v47, sext(v47) dst_sel:DWORD dst_unused:UNUSED_PAD src0_sel:BYTE_0
	v_pack_b32_f16 v39, v39, v47
	v_pk_mul_f16 v39, v39, v43
	v_ashrrev_i32_e32 v43, v1, v46
	v_and_b32_e32 v43, 0xf0f0f0f, v43
	v_lshlrev_b16 v46, 8, v43
	v_and_b32_e32 v47, 0xf00, v43
	v_lshrrev_b32_e32 v43, 16, v43
	v_add_nc_u16 v46, 0xf800, v46
	v_or_b32_sdwa v46, v47, v46 dst_sel:DWORD dst_unused:UNUSED_PAD src0_sel:DWORD src1_sel:BYTE_1
	v_lshlrev_b16 v47, 8, v43
	v_and_b32_e32 v43, 0xf00, v43
	v_add_nc_u16 v46, 0xf800, v46
	v_add_nc_u16 v47, 0xf800, v47
	v_or_b32_sdwa v43, v43, v47 dst_sel:DWORD dst_unused:UNUSED_PAD src0_sel:DWORD src1_sel:BYTE_1
	v_lshrrev_b32_e32 v47, 8, v46
	v_cvt_f16_i16_sdwa v46, sext(v46) dst_sel:DWORD dst_unused:UNUSED_PAD src0_sel:BYTE_0
	v_add_nc_u16 v43, 0xf800, v43
	v_cvt_f16_i16_sdwa v47, sext(v47) dst_sel:DWORD dst_unused:UNUSED_PAD src0_sel:BYTE_0
	v_pack_b32_f16 v46, v46, v47
	v_lshrrev_b32_e32 v47, 8, v43
	v_cvt_f16_i16_sdwa v43, sext(v43) dst_sel:DWORD dst_unused:UNUSED_PAD src0_sel:BYTE_0
	v_pk_mul_f16 v122, v46, v38
	v_cvt_f16_i16_sdwa v47, sext(v47) dst_sel:DWORD dst_unused:UNUSED_PAD src0_sel:BYTE_0
	v_pack_b32_f16 v43, v43, v47
	v_pk_mul_f16 v38, v43, v38
	v_mul_u32_u24_sdwa v43, v44, v208 dst_sel:DWORD dst_unused:UNUSED_PAD src0_sel:WORD_0 src1_sel:DWORD
	v_pk_fma_f16 v46, v42, v43, v50
	v_pk_fma_f16 v47, v39, v43, v51
	;; [unrolled: 1-line block ×4, first 2 shown]
	v_mul_u32_u24_sdwa v43, v40, v208 dst_sel:DWORD dst_unused:UNUSED_PAD src0_sel:WORD_0 src1_sel:DWORD
	v_mul_u32_u24_sdwa v40, v40, v208 dst_sel:DWORD dst_unused:UNUSED_PAD src0_sel:WORD_1 src1_sel:DWORD
	ds_write_b128 v127, v[46:49]
	v_pk_fma_f16 v50, v42, v43, v34
	v_add_co_u32 v34, vcc_lo, v90, s2
	v_pk_fma_f16 v51, v39, v43, v35
	v_add_co_ci_u32_e64 v35, null, 0, v87, vcc_lo
	buffer_load_dword v87, off, s[96:99], 0 offset:980 ; 4-byte Folded Reload
	v_pk_fma_f16 v52, v122, v43, v36
	v_pk_fma_f16 v53, v38, v43, v37
	global_load_dword v36, v[34:35], off
	v_add_co_u32 v34, vcc_lo, v223, s2
	v_add_co_ci_u32_e64 v35, null, 0, v92, vcc_lo
	buffer_load_dword v122, off, s[96:99], 0 offset:932 ; 4-byte Folded Reload
	ds_write_b128 v127, v[50:53] offset:16
	global_load_ushort v37, v[34:35], off
	v_add_co_u32 v34, vcc_lo, v85, s2
	s_waitcnt vmcnt(3)
	v_add_co_ci_u32_e64 v35, null, 0, v87, vcc_lo
	global_load_dword v38, v[34:35], off
	v_add_co_u32 v34, vcc_lo, v88, s2
	v_add_co_ci_u32_e64 v35, null, 0, v89, vcc_lo
	s_waitcnt vmcnt(1)
	v_mul_u32_u24_e32 v37, 0x10001, v37
	global_load_ushort v34, v[34:35], off
	v_ashrrev_i32_e32 v35, v1, v36
	v_and_b32_e32 v35, 0xf0f0f0f, v35
	v_lshlrev_b16 v36, 8, v35
	v_and_b32_e32 v39, 0xf00, v35
	v_lshrrev_b32_e32 v35, 16, v35
	v_add_nc_u16 v36, 0xf800, v36
	v_or_b32_sdwa v36, v39, v36 dst_sel:DWORD dst_unused:UNUSED_PAD src0_sel:DWORD src1_sel:BYTE_1
	v_lshlrev_b16 v39, 8, v35
	v_and_b32_e32 v35, 0xf00, v35
	v_add_nc_u16 v36, 0xf800, v36
	v_add_nc_u16 v39, 0xf800, v39
	v_or_b32_sdwa v35, v35, v39 dst_sel:DWORD dst_unused:UNUSED_PAD src0_sel:DWORD src1_sel:BYTE_1
	v_lshrrev_b32_e32 v39, 8, v36
	v_cvt_f16_i16_sdwa v36, sext(v36) dst_sel:DWORD dst_unused:UNUSED_PAD src0_sel:BYTE_0
	v_add_nc_u16 v35, 0xf800, v35
	v_cvt_f16_i16_sdwa v39, sext(v39) dst_sel:DWORD dst_unused:UNUSED_PAD src0_sel:BYTE_0
	v_pack_b32_f16 v36, v36, v39
	v_lshrrev_b32_e32 v39, 8, v35
	v_cvt_f16_i16_sdwa v35, sext(v35) dst_sel:DWORD dst_unused:UNUSED_PAD src0_sel:BYTE_0
	v_cvt_f16_i16_sdwa v39, sext(v39) dst_sel:DWORD dst_unused:UNUSED_PAD src0_sel:BYTE_0
	v_pack_b32_f16 v35, v35, v39
	v_pk_mul_f16 v39, v36, v37
	v_pk_mul_f16 v42, v35, v37
	s_waitcnt vmcnt(1)
	v_ashrrev_i32_e32 v35, v1, v38
	v_and_b32_e32 v35, 0xf0f0f0f, v35
	s_waitcnt vmcnt(0)
	v_mul_u32_u24_e32 v34, 0x10001, v34
	v_lshlrev_b16 v36, 8, v35
	v_and_b32_e32 v37, 0xf00, v35
	v_lshrrev_b32_e32 v35, 16, v35
	v_add_nc_u16 v36, 0xf800, v36
	v_or_b32_sdwa v36, v37, v36 dst_sel:DWORD dst_unused:UNUSED_PAD src0_sel:DWORD src1_sel:BYTE_1
	v_lshlrev_b16 v37, 8, v35
	v_and_b32_e32 v35, 0xf00, v35
	v_add_nc_u16 v36, 0xf800, v36
	v_add_nc_u16 v37, 0xf800, v37
	v_or_b32_sdwa v35, v35, v37 dst_sel:DWORD dst_unused:UNUSED_PAD src0_sel:DWORD src1_sel:BYTE_1
	v_lshrrev_b32_e32 v37, 8, v36
	v_cvt_f16_i16_sdwa v36, sext(v36) dst_sel:DWORD dst_unused:UNUSED_PAD src0_sel:BYTE_0
	v_add_nc_u16 v35, 0xf800, v35
	v_cvt_f16_i16_sdwa v37, sext(v37) dst_sel:DWORD dst_unused:UNUSED_PAD src0_sel:BYTE_0
	v_pack_b32_f16 v36, v36, v37
	v_lshrrev_b32_e32 v37, 8, v35
	v_cvt_f16_i16_sdwa v35, sext(v35) dst_sel:DWORD dst_unused:UNUSED_PAD src0_sel:BYTE_0
	v_pk_mul_f16 v38, v36, v34
	v_cvt_f16_i16_sdwa v37, sext(v37) dst_sel:DWORD dst_unused:UNUSED_PAD src0_sel:BYTE_0
	v_pack_b32_f16 v35, v35, v37
	v_mul_u32_u24_sdwa v37, v44, v208 dst_sel:DWORD dst_unused:UNUSED_PAD src0_sel:WORD_1 src1_sel:DWORD
	v_pk_mul_f16 v43, v35, v34
	v_pk_fma_f16 v36, v38, v37, v48
	v_pk_fma_f16 v48, v38, v40, v52
	v_add_co_u32 v38, vcc_lo, v79, s2
	v_pk_fma_f16 v34, v39, v37, v46
	v_pk_fma_f16 v46, v39, v40, v50
	v_add_co_ci_u32_e64 v39, null, 0, v0, vcc_lo
	v_pk_fma_f16 v35, v42, v37, v47
	v_pk_fma_f16 v37, v43, v37, v49
	;; [unrolled: 1-line block ×4, first 2 shown]
	global_load_dword v40, v[38:39], off
	v_add_co_u32 v38, vcc_lo, v86, s2
	v_add_co_ci_u32_e64 v39, null, 0, v84, vcc_lo
	ds_write_b128 v127, v[34:37]
	ds_write_b128 v127, v[46:49] offset:16
	global_load_ushort v42, v[38:39], off
	v_add_co_u32 v38, vcc_lo, v56, s2
	v_add_co_ci_u32_e64 v39, null, 0, v81, vcc_lo
	global_load_dword v43, v[38:39], off
	v_add_co_u32 v38, vcc_lo, v77, s2
	v_add_co_ci_u32_e64 v39, null, 0, v83, vcc_lo
	global_load_ushort v38, v[38:39], off
	s_waitcnt vmcnt(3)
	v_ashrrev_i32_e32 v39, v1, v40
	v_and_b32_e32 v39, 0xf0f0f0f, v39
	s_waitcnt vmcnt(2)
	v_mul_u32_u24_e32 v42, 0x10001, v42
	v_lshlrev_b16 v40, 8, v39
	v_and_b32_e32 v44, 0xf00, v39
	v_lshrrev_b32_e32 v39, 16, v39
	v_add_nc_u16 v40, 0xf800, v40
	v_or_b32_sdwa v40, v44, v40 dst_sel:DWORD dst_unused:UNUSED_PAD src0_sel:DWORD src1_sel:BYTE_1
	v_lshlrev_b16 v44, 8, v39
	v_and_b32_e32 v39, 0xf00, v39
	s_waitcnt vmcnt(0)
	v_mul_u32_u24_e32 v38, 0x10001, v38
	v_add_nc_u16 v40, 0xf800, v40
	v_add_nc_u16 v44, 0xf800, v44
	v_or_b32_sdwa v39, v39, v44 dst_sel:DWORD dst_unused:UNUSED_PAD src0_sel:DWORD src1_sel:BYTE_1
	v_lshrrev_b32_e32 v44, 8, v40
	v_cvt_f16_i16_sdwa v40, sext(v40) dst_sel:DWORD dst_unused:UNUSED_PAD src0_sel:BYTE_0
	v_add_nc_u16 v39, 0xf800, v39
	v_cvt_f16_i16_sdwa v44, sext(v44) dst_sel:DWORD dst_unused:UNUSED_PAD src0_sel:BYTE_0
	v_pack_b32_f16 v40, v40, v44
	v_lshrrev_b32_e32 v44, 8, v39
	v_cvt_f16_i16_sdwa v39, sext(v39) dst_sel:DWORD dst_unused:UNUSED_PAD src0_sel:BYTE_0
	v_pk_mul_f16 v40, v40, v42
	v_cvt_f16_i16_sdwa v44, sext(v44) dst_sel:DWORD dst_unused:UNUSED_PAD src0_sel:BYTE_0
	v_pack_b32_f16 v39, v39, v44
	v_pk_mul_f16 v39, v39, v42
	v_ashrrev_i32_e32 v42, v1, v43
	v_and_b32_e32 v42, 0xf0f0f0f, v42
	v_lshlrev_b16 v43, 8, v42
	v_and_b32_e32 v44, 0xf00, v42
	v_lshrrev_b32_e32 v42, 16, v42
	v_add_nc_u16 v43, 0xf800, v43
	v_or_b32_sdwa v43, v44, v43 dst_sel:DWORD dst_unused:UNUSED_PAD src0_sel:DWORD src1_sel:BYTE_1
	v_lshlrev_b16 v44, 8, v42
	v_and_b32_e32 v42, 0xf00, v42
	v_add_nc_u16 v43, 0xf800, v43
	v_add_nc_u16 v44, 0xf800, v44
	v_or_b32_sdwa v42, v42, v44 dst_sel:DWORD dst_unused:UNUSED_PAD src0_sel:DWORD src1_sel:BYTE_1
	v_lshrrev_b32_e32 v44, 8, v43
	v_cvt_f16_i16_sdwa v43, sext(v43) dst_sel:DWORD dst_unused:UNUSED_PAD src0_sel:BYTE_0
	v_add_nc_u16 v42, 0xf800, v42
	v_cvt_f16_i16_sdwa v44, sext(v44) dst_sel:DWORD dst_unused:UNUSED_PAD src0_sel:BYTE_0
	v_pack_b32_f16 v43, v43, v44
	v_lshrrev_b32_e32 v44, 8, v42
	v_cvt_f16_i16_sdwa v42, sext(v42) dst_sel:DWORD dst_unused:UNUSED_PAD src0_sel:BYTE_0
	v_pk_mul_f16 v43, v43, v38
	v_cvt_f16_i16_sdwa v44, sext(v44) dst_sel:DWORD dst_unused:UNUSED_PAD src0_sel:BYTE_0
	v_pack_b32_f16 v42, v42, v44
	v_pk_mul_f16 v38, v42, v38
	v_mul_u32_u24_sdwa v42, v45, v208 dst_sel:DWORD dst_unused:UNUSED_PAD src0_sel:WORD_0 src1_sel:DWORD
	v_pk_fma_f16 v53, v38, v42, v37
	v_mul_u32_u24_sdwa v37, v41, v208 dst_sel:DWORD dst_unused:UNUSED_PAD src0_sel:WORD_0 src1_sel:DWORD
	v_pk_fma_f16 v50, v40, v42, v34
	v_pk_fma_f16 v51, v39, v42, v35
	;; [unrolled: 1-line block ×3, first 2 shown]
	v_mul_u32_u24_sdwa v41, v41, v208 dst_sel:DWORD dst_unused:UNUSED_PAD src0_sel:WORD_1 src1_sel:DWORD
	v_pk_fma_f16 v34, v40, v37, v46
	v_pk_fma_f16 v35, v39, v37, v47
	;; [unrolled: 1-line block ×4, first 2 shown]
	v_add_co_u32 v38, vcc_lo, v147, s2
	v_add_co_ci_u32_e64 v39, null, 0, v128, vcc_lo
	v_mul_u32_u24_sdwa v40, v45, v208 dst_sel:DWORD dst_unused:UNUSED_PAD src0_sel:WORD_1 src1_sel:DWORD
	ds_write_b128 v127, v[50:53]
	global_load_dword v42, v[38:39], off
	v_add_co_u32 v38, vcc_lo, v118, s2
	v_add_co_ci_u32_e64 v39, null, 0, v124, vcc_lo
	global_load_ushort v43, v[38:39], off
	v_add_co_u32 v38, vcc_lo, v68, s2
	v_add_co_ci_u32_e64 v39, null, 0, v73, vcc_lo
	global_load_dword v44, v[38:39], off
	v_add_co_u32 v38, vcc_lo, v150, s2
	v_add_co_ci_u32_e64 v39, null, 0, v122, vcc_lo
	global_load_ushort v38, v[38:39], off
	s_waitcnt vmcnt(3)
	v_ashrrev_i32_e32 v39, v1, v42
	v_and_b32_e32 v39, 0xf0f0f0f, v39
	s_waitcnt vmcnt(2)
	v_mul_u32_u24_e32 v43, 0x10001, v43
	v_lshlrev_b16 v42, 8, v39
	v_and_b32_e32 v45, 0xf00, v39
	v_lshrrev_b32_e32 v39, 16, v39
	v_add_nc_u16 v42, 0xf800, v42
	v_or_b32_sdwa v42, v45, v42 dst_sel:DWORD dst_unused:UNUSED_PAD src0_sel:DWORD src1_sel:BYTE_1
	v_lshlrev_b16 v45, 8, v39
	v_and_b32_e32 v39, 0xf00, v39
	s_waitcnt vmcnt(0)
	v_mul_u32_u24_e32 v38, 0x10001, v38
	v_add_nc_u16 v42, 0xf800, v42
	v_add_nc_u16 v45, 0xf800, v45
	v_or_b32_sdwa v39, v39, v45 dst_sel:DWORD dst_unused:UNUSED_PAD src0_sel:DWORD src1_sel:BYTE_1
	v_lshrrev_b32_e32 v45, 8, v42
	v_cvt_f16_i16_sdwa v42, sext(v42) dst_sel:DWORD dst_unused:UNUSED_PAD src0_sel:BYTE_0
	v_add_nc_u16 v39, 0xf800, v39
	v_cvt_f16_i16_sdwa v45, sext(v45) dst_sel:DWORD dst_unused:UNUSED_PAD src0_sel:BYTE_0
	v_pack_b32_f16 v42, v42, v45
	v_lshrrev_b32_e32 v45, 8, v39
	v_cvt_f16_i16_sdwa v39, sext(v39) dst_sel:DWORD dst_unused:UNUSED_PAD src0_sel:BYTE_0
	v_pk_mul_f16 v46, v42, v43
	v_cvt_f16_i16_sdwa v45, sext(v45) dst_sel:DWORD dst_unused:UNUSED_PAD src0_sel:BYTE_0
	v_ashrrev_i32_e32 v42, v1, v44
	v_pack_b32_f16 v39, v39, v45
	v_and_b32_e32 v42, 0xf0f0f0f, v42
	v_pk_mul_f16 v39, v39, v43
	v_lshlrev_b16 v43, 8, v42
	v_and_b32_e32 v44, 0xf00, v42
	v_lshrrev_b32_e32 v42, 16, v42
	v_add_nc_u16 v43, 0xf800, v43
	v_or_b32_sdwa v43, v44, v43 dst_sel:DWORD dst_unused:UNUSED_PAD src0_sel:DWORD src1_sel:BYTE_1
	v_lshlrev_b16 v44, 8, v42
	v_and_b32_e32 v42, 0xf00, v42
	v_add_nc_u16 v43, 0xf800, v43
	v_add_nc_u16 v44, 0xf800, v44
	v_or_b32_sdwa v42, v42, v44 dst_sel:DWORD dst_unused:UNUSED_PAD src0_sel:DWORD src1_sel:BYTE_1
	v_lshrrev_b32_e32 v44, 8, v43
	v_cvt_f16_i16_sdwa v43, sext(v43) dst_sel:DWORD dst_unused:UNUSED_PAD src0_sel:BYTE_0
	v_add_nc_u16 v42, 0xf800, v42
	v_cvt_f16_i16_sdwa v44, sext(v44) dst_sel:DWORD dst_unused:UNUSED_PAD src0_sel:BYTE_0
	v_pack_b32_f16 v43, v43, v44
	v_lshrrev_b32_e32 v44, 8, v42
	v_cvt_f16_i16_sdwa v42, sext(v42) dst_sel:DWORD dst_unused:UNUSED_PAD src0_sel:BYTE_0
	v_pk_mul_f16 v47, v43, v38
	v_cvt_f16_i16_sdwa v44, sext(v44) dst_sel:DWORD dst_unused:UNUSED_PAD src0_sel:BYTE_0
	v_pk_fma_f16 v43, v39, v40, v51
	v_pk_fma_f16 v39, v39, v41, v35
	v_pack_b32_f16 v42, v42, v44
	v_pk_fma_f16 v44, v47, v40, v52
	v_pk_mul_f16 v48, v42, v38
	v_pk_fma_f16 v42, v46, v40, v50
	v_pk_fma_f16 v38, v46, v41, v34
	;; [unrolled: 1-line block ×5, first 2 shown]
	ds_write_b128 v127, v[34:37] offset:16
	ds_write_b128 v127, v[42:45]
	ds_write_b128 v127, v[38:41] offset:16
	s_clause 0x3
	buffer_load_dword v0, off, s[96:99], 0 offset:504
	buffer_load_dword v1, off, s[96:99], 0 offset:508
	;; [unrolled: 1-line block ×4, first 2 shown]
	v_mov_b32_e32 v35, v22
	s_waitcnt vmcnt(0)
	v_fma_f32 v0, v2, v0, v7
	s_clause 0x1
	buffer_load_dword v2, off, s[96:99], 0 offset:512
	buffer_load_dword v7, off, s[96:99], 0 offset:1072
	s_waitcnt vmcnt(0)
	v_fma_f32 v1, v2, v1, v7
	buffer_store_dword v0, off, s[96:99], 0 offset:504 ; 4-byte Folded Spill
	buffer_store_dword v1, off, s[96:99], 0 offset:508 ; 4-byte Folded Spill
	s_clause 0x2
	buffer_load_dword v0, off, s[96:99], 0 offset:4
	buffer_load_dword v1, off, s[96:99], 0 offset:556
	;; [unrolled: 1-line block ×3, first 2 shown]
	v_mov_b32_e32 v2, v82
	s_clause 0x3
	buffer_load_dword v57, off, s[96:99], 0 offset:1100
	buffer_load_dword v67, off, s[96:99], 0 offset:1112
	;; [unrolled: 1-line block ×4, first 2 shown]
	s_waitcnt vmcnt(6)
	v_add_co_u32 v0, vcc_lo, v0, s4
	buffer_store_dword v0, off, s[96:99], 0 offset:4 ; 4-byte Folded Spill
	buffer_load_dword v0, off, s[96:99], 0 offset:8 ; 4-byte Folded Reload
	s_waitcnt vmcnt(0)
	v_add_co_ci_u32_e64 v0, null, 0, v0, vcc_lo
	buffer_store_dword v0, off, s[96:99], 0 offset:8 ; 4-byte Folded Spill
	buffer_load_dword v0, off, s[96:99], 0 offset:236 ; 4-byte Folded Reload
	s_waitcnt vmcnt(0)
	v_add_co_u32 v0, vcc_lo, v0, s78
	buffer_store_dword v0, off, s[96:99], 0 offset:236 ; 4-byte Folded Spill
	buffer_load_dword v0, off, s[96:99], 0 offset:240 ; 4-byte Folded Reload
	s_waitcnt vmcnt(0)
	v_add_co_ci_u32_e64 v0, null, s79, v0, vcc_lo
	buffer_store_dword v0, off, s[96:99], 0 offset:240 ; 4-byte Folded Spill
	buffer_load_dword v0, off, s[96:99], 0 offset:12 ; 4-byte Folded Reload
	s_waitcnt vmcnt(0)
	v_add_co_u32 v0, vcc_lo, v0, s78
	buffer_store_dword v0, off, s[96:99], 0 offset:12 ; 4-byte Folded Spill
	buffer_load_dword v0, off, s[96:99], 0 offset:16 ; 4-byte Folded Reload
	s_waitcnt vmcnt(0)
	v_add_co_ci_u32_e64 v0, null, s79, v0, vcc_lo
	v_add_co_u32 v78, vcc_lo, v78, s78
	v_add_co_ci_u32_e64 v207, null, s79, v207, vcc_lo
	buffer_store_dword v0, off, s[96:99], 0 offset:16 ; 4-byte Folded Spill
	buffer_load_dword v0, off, s[96:99], 0 offset:20 ; 4-byte Folded Reload
	v_add_co_u32 v111, vcc_lo, v111, s5
	v_add_co_ci_u32_e64 v158, null, 0, v158, vcc_lo
	v_add_co_u32 v135, vcc_lo, v135, s5
	v_add_co_ci_u32_e64 v3, null, 0, v3, vcc_lo
	v_add_co_u32 v182, vcc_lo, v182, s5
	v_add_co_ci_u32_e64 v189, null, 0, v189, vcc_lo
	buffer_store_dword v207, off, s[96:99], 0 offset:520 ; 4-byte Folded Spill
	buffer_load_dword v207, off, s[96:99], 0 offset:216 ; 4-byte Folded Reload
	buffer_store_dword v78, off, s[96:99], 0 offset:524 ; 4-byte Folded Spill
	buffer_store_dword v189, off, s[96:99], 0 offset:548 ; 4-byte Folded Spill
	v_mov_b32_e32 v189, v124
	s_clause 0x1
	buffer_load_dword v124, off, s[96:99], 0 offset:1084
	buffer_load_dword v78, off, s[96:99], 0 offset:828
	buffer_store_dword v182, off, s[96:99], 0 offset:544 ; 4-byte Folded Spill
	v_mov_b32_e32 v182, v118
	buffer_store_dword v111, off, s[96:99], 0 offset:528 ; 4-byte Folded Spill
	buffer_store_dword v158, off, s[96:99], 0 offset:532 ; 4-byte Folded Spill
	;; [unrolled: 1-line block ×4, first 2 shown]
	s_waitcnt vmcnt(3)
	v_add_co_u32 v0, vcc_lo, v0, s4
	buffer_store_dword v0, off, s[96:99], 0 offset:20 ; 4-byte Folded Spill
	buffer_load_dword v0, off, s[96:99], 0 offset:24 ; 4-byte Folded Reload
	s_waitcnt vmcnt(0)
	v_add_co_ci_u32_e64 v0, null, 0, v0, vcc_lo
	v_add_co_u32 v78, vcc_lo, v78, s4
	buffer_store_dword v0, off, s[96:99], 0 offset:24 ; 4-byte Folded Spill
	buffer_load_dword v0, off, s[96:99], 0 offset:552 ; 4-byte Folded Reload
	s_waitcnt vmcnt(0)
	v_add_co_ci_u32_e64 v0, null, 0, v0, vcc_lo
	v_add_co_u32 v172, vcc_lo, v172, s5
	v_add_co_ci_u32_e64 v55, null, 0, v55, vcc_lo
	v_add_co_u32 v59, vcc_lo, v59, s5
	;; [unrolled: 2-line block ×40, first 2 shown]
	v_add_co_ci_u32_e64 v20, null, 0, v20, vcc_lo
	buffer_store_dword v155, off, s[96:99], 0 offset:552 ; 4-byte Folded Spill
	buffer_store_dword v153, off, s[96:99], 0 offset:556 ; 4-byte Folded Spill
	buffer_store_dword v19, off, s[96:99], 0 ; 4-byte Folded Spill
	buffer_store_dword v18, off, s[96:99], 0 offset:32 ; 4-byte Folded Spill
	buffer_store_dword v20, off, s[96:99], 0 offset:28 ; 4-byte Folded Spill
	s_clause 0x24
	buffer_load_dword v158, off, s[96:99], 0 offset:232
	buffer_load_dword v255, off, s[96:99], 0 offset:224
	;; [unrolled: 1-line block ×37, first 2 shown]
	v_mov_b32_e32 v153, v222
	s_clause 0xb
	buffer_load_dword v222, off, s[96:99], 0 offset:68
	buffer_load_dword v44, off, s[96:99], 0 offset:72
	;; [unrolled: 1-line block ×12, first 2 shown]
	v_add_co_u32 v138, vcc_lo, v138, s5
	v_add_co_ci_u32_e64 v134, null, 0, v134, vcc_lo
	v_add_co_u32 v225, vcc_lo, v225, s5
	v_add_co_ci_u32_e64 v166, null, 0, v166, vcc_lo
	;; [unrolled: 2-line block ×39, first 2 shown]
	s_waitcnt vmcnt(19)
	v_add_co_u32 v39, vcc_lo, v39, s5
	s_waitcnt vmcnt(18)
	v_add_co_ci_u32_e64 v40, null, 0, v40, vcc_lo
	v_add_co_u32 v181, vcc_lo, v181, s5
	s_waitcnt vmcnt(17)
	v_add_co_ci_u32_e64 v36, null, 0, v36, vcc_lo
	s_waitcnt vmcnt(16)
	v_add_co_u32 v37, vcc_lo, v37, s5
	s_waitcnt vmcnt(15)
	v_add_co_ci_u32_e64 v34, null, 0, v34, vcc_lo
	s_waitcnt vmcnt(14)
	;; [unrolled: 4-line block ×5, first 2 shown]
	v_add_co_u32 v45, vcc_lo, v45, s5
	s_waitcnt vmcnt(7)
	v_add_co_ci_u32_e64 v46, null, 0, v46, vcc_lo
	v_add_co_u32 v231, vcc_lo, v231, s5
	v_add_co_ci_u32_e64 v142, null, 0, v142, vcc_lo
	s_waitcnt vmcnt(6)
	v_add_co_u32 v47, vcc_lo, v47, s5
	v_add_co_ci_u32_e64 v165, null, 0, v165, vcc_lo
	v_add_co_u32 v220, vcc_lo, v220, s5
	v_add_co_ci_u32_e64 v135, null, 0, v75, vcc_lo
	s_waitcnt vmcnt(5)
	v_add_co_u32 v48, vcc_lo, v48, s5
	s_waitcnt vmcnt(4)
	v_add_co_ci_u32_e64 v49, null, 0, v49, vcc_lo
	v_add_co_u32 v137, vcc_lo, v137, s5
	v_add_co_ci_u32_e64 v227, null, 0, v227, vcc_lo
	s_waitcnt vmcnt(3)
	v_add_co_u32 v50, vcc_lo, v50, s5
	v_add_co_ci_u32_e64 v228, null, 0, v228, vcc_lo
	v_add_co_u32 v146, vcc_lo, v146, s5
	v_add_co_ci_u32_e64 v148, null, 0, v148, vcc_lo
	s_waitcnt vmcnt(2)
	v_add_co_u32 v52, vcc_lo, v52, s5
	s_waitcnt vmcnt(0)
	v_add_co_ci_u32_e64 v53, null, 0, v53, vcc_lo
	v_add_co_u32 v149, vcc_lo, v221, s5
	v_add_co_ci_u32_e64 v224, null, 0, v125, vcc_lo
	v_add_co_u32 v118, vcc_lo, v74, s5
	s_clause 0x1
	buffer_load_dword v74, off, s[96:99], 0 offset:1104
	buffer_load_dword v75, off, s[96:99], 0 offset:1108
	v_add_co_ci_u32_e64 v119, null, 0, v119, vcc_lo
	v_add_co_u32 v151, vcc_lo, v151, s5
	v_add_co_ci_u32_e64 v152, null, 0, v152, vcc_lo
	v_add_co_u32 v153, vcc_lo, v153, s5
	;; [unrolled: 2-line block ×30, first 2 shown]
	v_add_co_ci_u32_e64 v178, null, 0, v178, vcc_lo
	v_mov_b32_e32 v221, v128
	v_mov_b32_e32 v128, v56
	;; [unrolled: 1-line block ×27, first 2 shown]
	s_waitcnt vmcnt(0)
	v_mov_b32_e32 v42, v74
	v_mov_b32_e32 v43, v75
	buffer_store_dword v74, off, s[96:99], 0 offset:512 ; 4-byte Folded Spill
	buffer_store_dword v75, off, s[96:99], 0 offset:516 ; 4-byte Folded Spill
	v_mov_b32_e32 v74, v219
	buffer_load_dword v219, off, s[96:99], 0 offset:556 ; 4-byte Folded Reload
	v_mov_b32_e32 v75, v69
	buffer_load_dword v69, off, s[96:99], 0 offset:552 ; 4-byte Folded Reload
	s_cbranch_scc1 .LBB31_46
.LBB31_22:                              ; =>This Inner Loop Header: Depth=1
	buffer_store_dword v133, off, s[96:99], 0 offset:908 ; 4-byte Folded Spill
	buffer_store_dword v190, off, s[96:99], 0 offset:904 ; 4-byte Folded Spill
	;; [unrolled: 1-line block ×121, first 2 shown]
	v_add_co_u32 v36, vcc_lo, v78, s3
	v_add_co_ci_u32_e64 v37, null, 0, v0, vcc_lo
	v_add_co_u32 v45, vcc_lo, v1, s3
	buffer_store_dword v215, off, s[96:99], 0 offset:612 ; 4-byte Folded Spill
	buffer_store_dword v211, off, s[96:99], 0 offset:608 ; 4-byte Folded Spill
	;; [unrolled: 1-line block ×13, first 2 shown]
	v_add_co_ci_u32_e64 v46, null, 0, v38, vcc_lo
	s_clause 0x1
	buffer_load_dword v2, off, s[96:99], 0 offset:28
	buffer_load_dword v119, off, s[96:99], 0
	v_mov_b32_e32 v160, v140
	v_mov_b32_e32 v204, v138
	;; [unrolled: 1-line block ×3, first 2 shown]
	buffer_load_dword v2, off, s[96:99], 0 offset:32 ; 4-byte Folded Reload
	v_mov_b32_e32 v140, v125
	v_mov_b32_e32 v138, v112
	;; [unrolled: 1-line block ×13, first 2 shown]
	s_clause 0x7
	buffer_load_dword v189, off, s[96:99], 0 offset:548
	buffer_load_dword v182, off, s[96:99], 0 offset:544
	;; [unrolled: 1-line block ×8, first 2 shown]
	buffer_store_dword v0, off, s[96:99], 0 offset:552 ; 4-byte Folded Spill
	s_clause 0x8
	global_load_dword v47, v[36:37], off offset:2
	global_load_dword v48, v[36:37], off offset:10
	;; [unrolled: 1-line block ×9, first 2 shown]
	buffer_store_dword v1, off, s[96:99], 0 offset:556 ; 4-byte Folded Spill
	buffer_store_dword v38, off, s[96:99], 0 offset:560 ; 4-byte Folded Spill
	v_mov_b32_e32 v165, v145
	v_mov_b32_e32 v152, v131
	;; [unrolled: 1-line block ×9, first 2 shown]
	global_load_dword v210, v[36:37], off offset:82
	s_clause 0x1
	global_load_ushort v39, v[45:46], off offset:-126
	global_load_ushort v40, v[45:46], off offset:-108
	s_clause 0x1
	global_load_dword v212, v[36:37], off offset:92
	global_load_dword v214, v[36:37], off offset:100
	s_clause 0x1
	global_load_ushort v43, v[45:46], off offset:-90
	global_load_ushort v41, v[45:46], off offset:-72
	s_clause 0x1
	global_load_dword v230, v[36:37], off offset:110
	global_load_dword v231, v[36:37], off offset:118
	s_clause 0x1
	global_load_ushort v44, v[45:46], off offset:-54
	global_load_ushort v42, v[45:46], off offset:-36
	s_clause 0x1
	global_load_dword v232, v[36:37], off offset:128
	global_load_dword v36, v[36:37], off offset:136
	s_clause 0x1
	global_load_ushort v38, v[45:46], off offset:-18
	global_load_ushort v37, v[45:46], off
	s_clause 0x2
	buffer_load_dword v126, off, s[96:99], 0 offset:1140
	buffer_load_dword v226, off, s[96:99], 0 offset:248
	;; [unrolled: 1-line block ×3, first 2 shown]
	v_mov_b32_e32 v163, v143
	v_mov_b32_e32 v154, v225
	;; [unrolled: 1-line block ×12, first 2 shown]
	s_waitcnt vmcnt(39)
	v_mov_b32_e32 v115, v219
	v_mov_b32_e32 v82, v77
	;; [unrolled: 1-line block ×62, first 2 shown]
	s_waitcnt vmcnt(38)
	v_mov_b32_e32 v34, v69
	v_mov_b32_e32 v206, v104
	;; [unrolled: 1-line block ×23, first 2 shown]
	s_waitcnt vmcnt(26)
	v_and_b32_e32 v225, 0xf0f0f0f, v47
	s_waitcnt vmcnt(25)
	v_and_b32_e32 v223, 0xf0f0f0f, v48
	;; [unrolled: 2-line block ×4, first 2 shown]
	v_lshrrev_b32_e32 v47, 4, v47
	v_lshrrev_b32_e32 v48, 4, v48
	v_lshrrev_b32_e32 v49, 4, v49
	v_lshrrev_b32_e32 v50, 4, v50
	s_waitcnt vmcnt(22)
	v_and_b32_e32 v215, 0xf0f0f0f, v51
	v_and_b32_e32 v229, 0xf0f0f0f, v47
	;; [unrolled: 1-line block ×3, first 2 shown]
	s_waitcnt vmcnt(21)
	v_and_b32_e32 v213, 0xf0f0f0f, v52
	v_lshrrev_b32_e32 v51, 4, v51
	v_lshrrev_b32_e32 v52, 4, v52
	s_waitcnt vmcnt(20)
	v_and_b32_e32 v211, 0xf0f0f0f, v53
	s_waitcnt vmcnt(19)
	v_and_b32_e32 v121, 0xf0f0f0f, v120
	v_lshrrev_b32_e32 v53, 4, v53
	v_lshrrev_b32_e32 v120, 4, v120
	s_waitcnt vmcnt(18)
	v_and_b32_e32 v47, 0xf0f0f0f, v209
	s_waitcnt vmcnt(17)
	v_and_b32_e32 v48, 0xf0f0f0f, v210
	v_lshrrev_b32_e32 v209, 4, v209
	s_waitcnt vmcnt(1)
	v_dot4c_i32_i8 v45, v225, v226
	s_waitcnt vmcnt(0)
	v_dot4c_i32_i8 v46, v223, v227
	s_clause 0x7
	buffer_load_dword v226, off, s[96:99], 0 offset:256
	buffer_load_dword v227, off, s[96:99], 0 offset:260
	;; [unrolled: 1-line block ×8, first 2 shown]
	v_cvt_f32_i32_e32 v45, v45
	v_cvt_f32_i32_e32 v46, v46
	v_lshrrev_b32_e32 v210, 4, v210
	s_waitcnt vmcnt(4)
	v_fma_f32 v45, v2, v45, -v3
	v_dot4c_i32_i8 v216, v229, v226
	s_waitcnt vmcnt(1)
	v_dot4c_i32_i8 v220, v219, v0
	s_waitcnt vmcnt(0)
	v_dot4c_i32_i8 v221, v218, v1
	s_clause 0x1
	buffer_load_dword v0, off, s[96:99], 0 offset:272
	buffer_load_dword v1, off, s[96:99], 0 offset:276
	v_dot4c_i32_i8 v217, v228, v227
	v_and_b32_e32 v227, 0xf0f0f0f, v49
	v_and_b32_e32 v226, 0xf0f0f0f, v50
	v_fma_f32 v46, v2, v46, -v3
	v_cvt_f32_i32_e32 v216, v216
	v_fma_mix_f32 v45, v45, v39, 0 op_sel_hi:[0,1,0]
	v_cvt_f32_i32_e32 v217, v217
	v_cvt_f32_i32_e32 v50, v221
	v_and_b32_e32 v221, 0xf0f0f0f, v53
	v_fma_f32 v216, v2, v216, -v3
	v_fma_mix_f32 v45, v46, v39, v45 op_sel_hi:[0,1,0]
	v_fma_f32 v49, v2, v217, -v3
	v_cvt_f32_i32_e32 v46, v220
	v_and_b32_e32 v220, 0xf0f0f0f, v120
	v_and_b32_e32 v217, 0xf0f0f0f, v209
	v_fma_mix_f32 v45, v216, v39, v45 op_sel_hi:[0,1,0]
	v_fma_f32 v46, v4, v46, -v5
	v_fma_mix_f32 v45, v49, v39, v45 op_sel_hi:[0,1,0]
	v_fma_f32 v49, v4, v50, -v5
	v_fma_mix_f32 v45, v46, v40, v45 op_sel_hi:[0,1,0]
	v_and_b32_e32 v46, 0xf0f0f0f, v212
	v_fma_mix_f32 v45, v49, v40, v45 op_sel_hi:[0,1,0]
	s_waitcnt vmcnt(1)
	v_dot4c_i32_i8 v222, v227, v0
	s_waitcnt vmcnt(0)
	v_dot4c_i32_i8 v224, v226, v1
	s_clause 0x1
	buffer_load_dword v0, off, s[96:99], 0 offset:280
	buffer_load_dword v1, off, s[96:99], 0 offset:284
	v_cvt_f32_i32_e32 v50, v222
	v_cvt_f32_i32_e32 v216, v224
	v_and_b32_e32 v224, 0xf0f0f0f, v51
	v_and_b32_e32 v222, 0xf0f0f0f, v52
	v_fma_f32 v50, v4, v50, -v5
	v_fma_f32 v51, v4, v216, -v5
	v_and_b32_e32 v216, 0xf0f0f0f, v210
	v_fma_mix_f32 v45, v50, v40, v45 op_sel_hi:[0,1,0]
	v_fma_mix_f32 v45, v51, v40, v45 op_sel_hi:[0,1,0]
	s_waitcnt vmcnt(1)
	v_dot4c_i32_i8 v233, v215, v0
	s_waitcnt vmcnt(0)
	v_dot4c_i32_i8 v234, v213, v1
	s_clause 0x5
	buffer_load_dword v0, off, s[96:99], 0 offset:288
	buffer_load_dword v1, off, s[96:99], 0 offset:292
	;; [unrolled: 1-line block ×6, first 2 shown]
	v_cvt_f32_i32_e32 v49, v233
	v_cvt_f32_i32_e32 v50, v234
	v_mov_b32_e32 v234, v126
	s_waitcnt vmcnt(2)
	v_fma_f32 v52, v6, v49, -v7
	v_dot4c_i32_i8 v235, v224, v0
	v_dot4c_i32_i8 v236, v222, v1
	s_clause 0x1
	buffer_load_dword v0, off, s[96:99], 0 offset:296
	buffer_load_dword v1, off, s[96:99], 0 offset:300
	v_and_b32_e32 v49, 0xf0f0f0f, v214
	v_fma_f32 v50, v6, v50, -v7
	v_cvt_f32_i32_e32 v51, v235
	v_fma_mix_f32 v45, v52, v43, v45 op_sel_hi:[0,1,0]
	v_lshrrev_b32_e32 v52, 4, v212
	v_cvt_f32_i32_e32 v212, v236
	v_fma_f32 v51, v6, v51, -v7
	v_fma_mix_f32 v45, v50, v43, v45 op_sel_hi:[0,1,0]
	v_fma_f32 v53, v6, v212, -v7
	v_fma_mix_f32 v45, v51, v43, v45 op_sel_hi:[0,1,0]
	v_fma_mix_f32 v45, v53, v43, v45 op_sel_hi:[0,1,0]
	v_lshrrev_b32_e32 v53, 4, v214
	v_and_b32_e32 v214, 0xf0f0f0f, v52
	s_waitcnt vmcnt(1)
	v_dot4c_i32_i8 v237, v211, v0
	s_waitcnt vmcnt(0)
	v_dot4c_i32_i8 v238, v121, v1
	s_clause 0x1
	buffer_load_dword v0, off, s[96:99], 0 offset:304
	buffer_load_dword v1, off, s[96:99], 0 offset:308
	v_cvt_f32_i32_e32 v50, v237
	v_cvt_f32_i32_e32 v51, v238
	v_fma_f32 v50, v8, v50, -v9
	v_fma_f32 v120, v8, v51, -v9
	v_and_b32_e32 v51, 0xf0f0f0f, v230
	v_fma_mix_f32 v45, v50, v41, v45 op_sel_hi:[0,1,0]
	v_fma_mix_f32 v45, v120, v41, v45 op_sel_hi:[0,1,0]
	s_waitcnt vmcnt(1)
	v_dot4c_i32_i8 v239, v221, v0
	s_waitcnt vmcnt(0)
	v_dot4c_i32_i8 v240, v220, v1
	s_clause 0x1
	buffer_load_dword v0, off, s[96:99], 0 offset:312
	buffer_load_dword v1, off, s[96:99], 0 offset:316
	v_cvt_f32_i32_e32 v212, v239
	v_cvt_f32_i32_e32 v50, v240
	v_fma_f32 v212, v8, v212, -v9
	v_fma_f32 v50, v8, v50, -v9
	v_fma_mix_f32 v45, v212, v41, v45 op_sel_hi:[0,1,0]
	v_fma_mix_f32 v45, v50, v41, v45 op_sel_hi:[0,1,0]
	v_and_b32_e32 v50, 0xf0f0f0f, v231
	s_waitcnt vmcnt(1)
	v_dot4c_i32_i8 v241, v47, v0
	s_waitcnt vmcnt(0)
	v_dot4c_i32_i8 v242, v48, v1
	s_clause 0x5
	buffer_load_dword v0, off, s[96:99], 0 offset:320
	buffer_load_dword v1, off, s[96:99], 0 offset:324
	;; [unrolled: 1-line block ×6, first 2 shown]
	v_cvt_f32_i32_e32 v120, v241
	v_cvt_f32_i32_e32 v209, v242
	s_waitcnt vmcnt(2)
	v_fma_f32 v120, v10, v120, -v11
	v_dot4c_i32_i8 v243, v217, v0
	v_dot4c_i32_i8 v244, v216, v1
	s_clause 0x1
	buffer_load_dword v0, off, s[96:99], 0 offset:328
	buffer_load_dword v1, off, s[96:99], 0 offset:332
	v_fma_f32 v209, v10, v209, -v11
	v_fma_mix_f32 v45, v120, v44, v45 op_sel_hi:[0,1,0]
	v_cvt_f32_i32_e32 v210, v243
	v_cvt_f32_i32_e32 v212, v244
	v_lshrrev_b32_e32 v120, 4, v230
	v_fma_mix_f32 v45, v209, v44, v45 op_sel_hi:[0,1,0]
	v_fma_f32 v210, v10, v210, -v11
	v_fma_f32 v209, v10, v212, -v11
	v_and_b32_e32 v212, 0xf0f0f0f, v53
	v_fma_mix_f32 v45, v210, v44, v45 op_sel_hi:[0,1,0]
	v_lshrrev_b32_e32 v210, 4, v231
	v_fma_mix_f32 v45, v209, v44, v45 op_sel_hi:[0,1,0]
	v_and_b32_e32 v210, 0xf0f0f0f, v210
	s_waitcnt vmcnt(1)
	v_dot4c_i32_i8 v245, v46, v0
	s_waitcnt vmcnt(0)
	v_dot4c_i32_i8 v246, v49, v1
	s_clause 0x1
	buffer_load_dword v0, off, s[96:99], 0 offset:336
	buffer_load_dword v1, off, s[96:99], 0 offset:340
	v_cvt_f32_i32_e32 v52, v245
	v_cvt_f32_i32_e32 v53, v246
	v_fma_f32 v52, v12, v52, -v13
	v_fma_f32 v53, v12, v53, -v13
	v_fma_mix_f32 v52, v52, v42, v45 op_sel_hi:[0,1,0]
	v_and_b32_e32 v45, 0xf0f0f0f, v232
	v_fma_mix_f32 v52, v53, v42, v52 op_sel_hi:[0,1,0]
	s_waitcnt vmcnt(1)
	v_dot4c_i32_i8 v247, v214, v0
	s_waitcnt vmcnt(0)
	v_dot4c_i32_i8 v248, v212, v1
	s_clause 0x1
	buffer_load_dword v0, off, s[96:99], 0 offset:344
	buffer_load_dword v1, off, s[96:99], 0 offset:348
	v_cvt_f32_i32_e32 v209, v247
	v_cvt_f32_i32_e32 v230, v248
	v_fma_f32 v231, v12, v209, -v13
	v_and_b32_e32 v209, 0xf0f0f0f, v120
	v_fma_f32 v120, v12, v230, -v13
	v_fma_mix_f32 v52, v231, v42, v52 op_sel_hi:[0,1,0]
	v_fma_mix_f32 v52, v120, v42, v52 op_sel_hi:[0,1,0]
	s_waitcnt vmcnt(1)
	v_dot4c_i32_i8 v249, v51, v0
	s_waitcnt vmcnt(0)
	v_dot4c_i32_i8 v250, v50, v1
	s_clause 0x5
	buffer_load_dword v0, off, s[96:99], 0 offset:352
	buffer_load_dword v1, off, s[96:99], 0 offset:356
	;; [unrolled: 1-line block ×6, first 2 shown]
	v_cvt_f32_i32_e32 v53, v249
	v_cvt_f32_i32_e32 v230, v250
	s_waitcnt vmcnt(2)
	v_fma_f32 v231, v14, v53, -v15
	v_dot4c_i32_i8 v251, v209, v0
	v_dot4c_i32_i8 v252, v210, v1
	s_clause 0x1
	buffer_load_dword v0, off, s[96:99], 0 offset:360
	buffer_load_dword v1, off, s[96:99], 0 offset:364
	v_and_b32_e32 v53, 0xf0f0f0f, v36
	v_fma_f32 v120, v14, v230, -v15
	v_cvt_f32_i32_e32 v230, v251
	v_fma_mix_f32 v52, v231, v38, v52 op_sel_hi:[0,1,0]
	v_lshrrev_b32_e32 v231, 4, v232
	v_cvt_f32_i32_e32 v232, v252
	v_lshrrev_b32_e32 v36, 4, v36
	v_fma_f32 v230, v14, v230, -v15
	v_fma_mix_f32 v52, v120, v38, v52 op_sel_hi:[0,1,0]
	v_and_b32_e32 v120, 0xf0f0f0f, v231
	v_fma_f32 v232, v14, v232, -v15
	v_fma_mix_f32 v230, v230, v38, v52 op_sel_hi:[0,1,0]
	v_and_b32_e32 v52, 0xf0f0f0f, v36
	v_fma_mix_f32 v230, v232, v38, v230 op_sel_hi:[0,1,0]
	s_waitcnt vmcnt(1)
	v_dot4c_i32_i8 v253, v45, v0
	s_waitcnt vmcnt(0)
	v_dot4c_i32_i8 v254, v53, v1
	s_clause 0x1
	buffer_load_dword v0, off, s[96:99], 0 offset:368
	buffer_load_dword v1, off, s[96:99], 0 offset:372
	v_cvt_f32_i32_e32 v233, v253
	v_cvt_f32_i32_e32 v36, v254
	v_fma_f32 v231, v16, v233, -v17
	v_fma_f32 v36, v16, v36, -v17
	v_fma_mix_f32 v230, v231, v37, v230 op_sel_hi:[0,1,0]
	v_fma_mix_f32 v36, v36, v37, v230 op_sel_hi:[0,1,0]
	s_waitcnt vmcnt(1)
	v_dot4c_i32_i8 v255, v120, v0
	s_waitcnt vmcnt(0)
	v_dot4c_i32_i8 v123, v52, v1
	v_cvt_f32_i32_e32 v231, v255
	v_cvt_f32_i32_e32 v123, v123
	v_fma_f32 v230, v16, v231, -v17
	v_fma_f32 v123, v16, v123, -v17
	v_fma_mix_f32 v36, v230, v37, v36 op_sel_hi:[0,1,0]
                                        ; implicit-def: $vgpr230
	v_fma_mix_f32 v36, v123, v37, v36 op_sel_hi:[0,1,0]
	ds_bpermute_b32 v123, v126, v36
	s_waitcnt lgkmcnt(0)
	v_add_f32_e32 v36, v36, v123
	v_cmp_ngt_f32_e64 s9, 0x3f200000, |v36|
	s_and_saveexec_b32 s10, s9
	s_xor_b32 s9, exec_lo, s10
	s_cbranch_execz .LBB31_24
; %bb.23:                               ;   in Loop: Header=BB31_22 Depth=1
	v_add_f32_e64 v123, |v36|, |v36|
	v_mul_f32_e32 v230, 0x3fb8aa3b, v123
	v_cmp_ngt_f32_e32 vcc_lo, 0xc2ce8ed0, v123
	v_rndne_f32_e32 v231, v230
	v_fma_f32 v232, 0x3fb8aa3b, v123, -v230
	v_sub_f32_e32 v230, v230, v231
	v_fmac_f32_e32 v232, 0x32a5705f, v123
	v_cvt_i32_f32_e32 v231, v231
	v_add_f32_e32 v230, v230, v232
	v_exp_f32_e32 v230, v230
	v_ldexp_f32 v230, v230, v231
	v_cndmask_b32_e32 v230, 0, v230, vcc_lo
	v_cmp_nlt_f32_e32 vcc_lo, 0x42b17218, v123
	v_cndmask_b32_e32 v123, 0x7f800000, v230, vcc_lo
	v_add_f32_e32 v123, 1.0, v123
	v_rcp_f32_e32 v123, v123
	v_fma_f32 v230, v123, -2.0, 1.0
.LBB31_24:                              ;   in Loop: Header=BB31_22 Depth=1
	s_or_saveexec_b32 s9, s9
	s_clause 0xf
	buffer_load_dword v18, off, s[96:99], 0 offset:1208
	buffer_load_dword v19, off, s[96:99], 0 offset:1212
	;; [unrolled: 1-line block ×16, first 2 shown]
	s_xor_b32 exec_lo, exec_lo, s9
	s_cbranch_execz .LBB31_26
; %bb.25:                               ;   in Loop: Header=BB31_22 Depth=1
	v_mul_f32_e32 v123, v36, v36
	v_fmaak_f32 v230, s8, v123, 0x3ca908c9
	v_fmaak_f32 v230, v123, v230, 0xbd5c1c4e
	;; [unrolled: 1-line block ×4, first 2 shown]
	v_mul_f32_e64 v230, |v36|, v230
	v_fma_f32 v230, v123, v230, |v36|
.LBB31_26:                              ;   in Loop: Header=BB31_22 Depth=1
	s_or_b32 exec_lo, exec_lo, s9
	v_bfi_b32 v36, 0x7fffffff, v230, v36
	s_andn2_b32 vcc_lo, exec_lo, s85
	v_mul_f32_e32 v36, s75, v36
	s_cbranch_vccnz .LBB31_28
; %bb.27:                               ;   in Loop: Header=BB31_22 Depth=1
	s_clause 0x1
	buffer_load_dword v0, off, s[96:99], 0 offset:12
	buffer_load_dword v122, off, s[96:99], 0 offset:244
	s_waitcnt vmcnt(1)
	v_add_co_u32 v230, vcc_lo, v0, s65
	buffer_load_dword v0, off, s[96:99], 0 offset:16 ; 4-byte Folded Reload
	s_waitcnt vmcnt(0)
	v_add_co_ci_u32_e64 v231, null, s67, v0, vcc_lo
	global_load_ushort v123, v[230:231], off offset:-2
	s_waitcnt vmcnt(0)
	v_fma_mix_f32 v36, v122, v123, v36 op_sel_hi:[0,1,0]
.LBB31_28:                              ;   in Loop: Header=BB31_22 Depth=1
	s_clause 0x1
	buffer_load_dword v0, off, s[96:99], 0 offset:376
	buffer_load_dword v1, off, s[96:99], 0 offset:380
	v_mov_b32_e32 v123, 0
	v_mov_b32_e32 v230, 0
	v_cvt_f32_f16_e32 v39, v39
	v_cvt_f32_f16_e32 v40, v40
	;; [unrolled: 1-line block ×8, first 2 shown]
	s_waitcnt vmcnt(1)
	v_dot4c_i32_i8 v123, v225, v0
	s_waitcnt vmcnt(0)
	v_dot4c_i32_i8 v230, v223, v1
	s_clause 0x1
	buffer_load_dword v0, off, s[96:99], 0 offset:384
	buffer_load_dword v1, off, s[96:99], 0 offset:388
	v_mov_b32_e32 v225, 0
	v_mov_b32_e32 v223, 0
	v_cvt_f32_i32_e32 v123, v123
	v_fma_f32 v123, v18, v123, -v19
	v_fma_f32 v123, v123, v39, 0
	s_waitcnt vmcnt(1)
	v_dot4c_i32_i8 v225, v229, v0
	s_waitcnt vmcnt(0)
	v_dot4c_i32_i8 v223, v228, v1
	s_clause 0x1
	buffer_load_dword v0, off, s[96:99], 0 offset:392
	buffer_load_dword v1, off, s[96:99], 0 offset:396
	v_cvt_f32_i32_e32 v229, v230
	v_mov_b32_e32 v230, 0
	v_cvt_f32_i32_e32 v225, v225
	v_fma_f32 v228, v18, v229, -v19
	v_mov_b32_e32 v229, 0
	v_fmac_f32_e32 v123, v228, v39
	s_waitcnt vmcnt(1)
	v_dot4c_i32_i8 v230, v219, v0
	s_waitcnt vmcnt(0)
	v_dot4c_i32_i8 v229, v218, v1
	s_clause 0x1
	buffer_load_dword v0, off, s[96:99], 0 offset:400
	buffer_load_dword v1, off, s[96:99], 0 offset:404
	v_cvt_f32_i32_e32 v219, v223
	v_fma_f32 v223, v18, v225, -v19
	v_mov_b32_e32 v225, 0
	v_cvt_f32_i32_e32 v218, v230
	v_fma_f32 v219, v18, v219, -v19
	v_fmac_f32_e32 v123, v223, v39
	v_mov_b32_e32 v223, 0
	v_fma_f32 v218, v20, v218, -v21
	v_fmac_f32_e32 v123, v219, v39
	v_mov_b32_e32 v39, 0
	v_fmac_f32_e32 v123, v218, v40
	v_mov_b32_e32 v218, 0
	s_waitcnt vmcnt(1)
	v_dot4c_i32_i8 v225, v227, v0
	s_waitcnt vmcnt(0)
	v_dot4c_i32_i8 v223, v226, v1
	s_clause 0x1
	buffer_load_dword v0, off, s[96:99], 0 offset:408
	buffer_load_dword v1, off, s[96:99], 0 offset:412
	v_cvt_f32_i32_e32 v227, v229
	v_cvt_f32_i32_e32 v219, v225
	v_fma_f32 v225, v20, v227, -v21
	v_fma_f32 v219, v20, v219, -v21
	v_fmac_f32_e32 v123, v225, v40
	v_fmac_f32_e32 v123, v219, v40
	s_waitcnt vmcnt(1)
	v_dot4c_i32_i8 v39, v215, v0
	s_waitcnt vmcnt(0)
	v_dot4c_i32_i8 v218, v213, v1
	s_clause 0x1
	buffer_load_dword v0, off, s[96:99], 0 offset:416
	buffer_load_dword v1, off, s[96:99], 0 offset:420
	v_cvt_f32_i32_e32 v215, v223
	v_mov_b32_e32 v223, 0
	v_cvt_f32_i32_e32 v39, v39
	v_cvt_f32_i32_e32 v218, v218
	v_fma_f32 v213, v20, v215, -v21
	v_mov_b32_e32 v215, 0
	v_fma_f32 v39, v22, v39, -v23
	v_fma_f32 v218, v22, v218, -v23
	v_fmac_f32_e32 v123, v213, v40
	v_mov_b32_e32 v40, 0
	v_fmac_f32_e32 v123, v39, v43
	v_mov_b32_e32 v39, 0
	v_fmac_f32_e32 v123, v218, v43
	s_waitcnt vmcnt(1)
	v_dot4c_i32_i8 v223, v224, v0
	s_waitcnt vmcnt(0)
	v_dot4c_i32_i8 v215, v222, v1
	s_clause 0x1
	buffer_load_dword v0, off, s[96:99], 0 offset:424
	buffer_load_dword v1, off, s[96:99], 0 offset:428
	v_cvt_f32_i32_e32 v213, v223
	v_fma_f32 v213, v22, v213, -v23
	v_fmac_f32_e32 v123, v213, v43
	s_waitcnt vmcnt(1)
	v_dot4c_i32_i8 v40, v211, v0
	s_waitcnt vmcnt(0)
	v_dot4c_i32_i8 v39, v121, v1
	s_clause 0x1
	buffer_load_dword v0, off, s[96:99], 0 offset:432
	buffer_load_dword v1, off, s[96:99], 0 offset:436
	v_cvt_f32_i32_e32 v211, v215
	v_mov_b32_e32 v215, 0
	v_cvt_f32_i32_e32 v40, v40
	v_cvt_f32_i32_e32 v39, v39
	v_fma_f32 v121, v22, v211, -v23
	v_mov_b32_e32 v211, 0
	v_fma_f32 v40, v24, v40, -v25
	v_fma_f32 v39, v24, v39, -v25
	v_fmac_f32_e32 v123, v121, v43
	v_mov_b32_e32 v43, 0
	v_fmac_f32_e32 v123, v40, v41
	v_mov_b32_e32 v40, 0
	;; [unrolled: 2-line block ×3, first 2 shown]
	s_waitcnt vmcnt(1)
	v_dot4c_i32_i8 v215, v221, v0
	s_waitcnt vmcnt(0)
	v_dot4c_i32_i8 v211, v220, v1
	s_clause 0x1
	buffer_load_dword v0, off, s[96:99], 0 offset:440
	buffer_load_dword v1, off, s[96:99], 0 offset:444
	v_cvt_f32_i32_e32 v121, v215
	v_fma_f32 v121, v24, v121, -v25
	v_fmac_f32_e32 v123, v121, v41
	s_waitcnt vmcnt(1)
	v_dot4c_i32_i8 v43, v47, v0
	s_waitcnt vmcnt(0)
	v_dot4c_i32_i8 v40, v48, v1
	s_clause 0x1
	buffer_load_dword v0, off, s[96:99], 0 offset:448
	buffer_load_dword v1, off, s[96:99], 0 offset:452
	v_mov_b32_e32 v48, 0
	v_cvt_f32_i32_e32 v47, v211
	v_cvt_f32_i32_e32 v43, v43
	;; [unrolled: 1-line block ×3, first 2 shown]
	v_fma_f32 v47, v24, v47, -v25
	v_fma_f32 v43, v26, v43, -v27
	;; [unrolled: 1-line block ×3, first 2 shown]
	v_fmac_f32_e32 v123, v47, v41
	v_mov_b32_e32 v41, 0
	v_fmac_f32_e32 v123, v43, v44
	v_mov_b32_e32 v43, 0
	;; [unrolled: 2-line block ×3, first 2 shown]
	s_waitcnt vmcnt(1)
	v_dot4c_i32_i8 v39, v217, v0
	s_waitcnt vmcnt(0)
	v_dot4c_i32_i8 v48, v216, v1
	s_clause 0x1
	buffer_load_dword v0, off, s[96:99], 0 offset:456
	buffer_load_dword v1, off, s[96:99], 0 offset:460
	v_cvt_f32_i32_e32 v39, v39
	v_fma_f32 v39, v26, v39, -v27
	v_fmac_f32_e32 v123, v39, v44
	s_waitcnt vmcnt(1)
	v_dot4c_i32_i8 v41, v46, v0
	s_waitcnt vmcnt(0)
	v_dot4c_i32_i8 v43, v49, v1
	s_clause 0x1
	buffer_load_dword v0, off, s[96:99], 0 offset:464
	buffer_load_dword v1, off, s[96:99], 0 offset:468
	v_cvt_f32_i32_e32 v46, v48
	v_cvt_f32_i32_e32 v41, v41
	;; [unrolled: 1-line block ×3, first 2 shown]
	v_mov_b32_e32 v43, 0
	v_fma_f32 v46, v26, v46, -v27
	v_fma_f32 v41, v28, v41, -v29
	;; [unrolled: 1-line block ×3, first 2 shown]
	v_fmac_f32_e32 v123, v46, v44
	v_mov_b32_e32 v44, 0
	v_fmac_f32_e32 v123, v41, v42
	v_mov_b32_e32 v41, 0
	v_fmac_f32_e32 v123, v39, v42
	s_waitcnt vmcnt(1)
	v_dot4c_i32_i8 v40, v214, v0
	s_waitcnt vmcnt(0)
	v_dot4c_i32_i8 v43, v212, v1
	s_clause 0x1
	buffer_load_dword v0, off, s[96:99], 0 offset:472
	buffer_load_dword v1, off, s[96:99], 0 offset:476
	v_cvt_f32_i32_e32 v40, v40
	v_cvt_f32_i32_e32 v39, v43
	v_fma_f32 v40, v28, v40, -v29
	v_fma_f32 v39, v28, v39, -v29
	v_fmac_f32_e32 v123, v40, v42
	v_fmac_f32_e32 v123, v39, v42
	v_mov_b32_e32 v42, 0
	s_waitcnt vmcnt(1)
	v_dot4c_i32_i8 v44, v51, v0
	s_waitcnt vmcnt(0)
	v_dot4c_i32_i8 v41, v50, v1
	s_clause 0x1
	buffer_load_dword v0, off, s[96:99], 0 offset:480
	buffer_load_dword v1, off, s[96:99], 0 offset:484
	v_cvt_f32_i32_e32 v43, v44
	v_mov_b32_e32 v44, 0
	v_cvt_f32_i32_e32 v41, v41
	v_fma_f32 v40, v30, v43, -v31
	v_mov_b32_e32 v43, 0
	v_fma_f32 v41, v30, v41, -v31
	v_fmac_f32_e32 v123, v40, v38
	v_mov_b32_e32 v40, 0
	v_fmac_f32_e32 v123, v41, v38
	v_mov_b32_e32 v41, 0
	s_waitcnt vmcnt(1)
	v_dot4c_i32_i8 v44, v209, v0
	s_waitcnt vmcnt(0)
	v_dot4c_i32_i8 v43, v210, v1
	s_clause 0x1
	buffer_load_dword v0, off, s[96:99], 0 offset:488
	buffer_load_dword v1, off, s[96:99], 0 offset:492
	v_cvt_f32_i32_e32 v39, v44
	v_cvt_f32_i32_e32 v43, v43
	v_fma_f32 v39, v30, v39, -v31
	v_fma_f32 v43, v30, v43, -v31
	v_fmac_f32_e32 v123, v39, v38
	v_fmac_f32_e32 v123, v43, v38
	s_waitcnt vmcnt(1)
	v_dot4c_i32_i8 v40, v45, v0
	s_waitcnt vmcnt(0)
	v_dot4c_i32_i8 v42, v53, v1
	s_clause 0x1
	buffer_load_dword v0, off, s[96:99], 0 offset:496
	buffer_load_dword v1, off, s[96:99], 0 offset:500
	v_cvt_f32_i32_e32 v39, v40
	v_cvt_f32_i32_e32 v40, v42
	v_fma_f32 v38, v32, v39, -v33
	v_mov_b32_e32 v39, 0
	v_fma_f32 v40, v32, v40, -v33
	v_fmac_f32_e32 v123, v38, v37
	v_fmac_f32_e32 v123, v40, v37
	s_waitcnt vmcnt(1)
	v_dot4c_i32_i8 v41, v120, v0
	s_waitcnt vmcnt(0)
	v_dot4c_i32_i8 v39, v52, v1
	v_cvt_f32_i32_e32 v41, v41
	v_cvt_f32_i32_e32 v39, v39
	v_fma_f32 v38, v32, v41, -v33
	v_fmac_f32_e32 v123, v38, v37
	v_fma_f32 v38, v32, v39, -v33
	v_fmac_f32_e32 v123, v38, v37
                                        ; implicit-def: $vgpr38
	ds_bpermute_b32 v37, v234, v123
	s_waitcnt lgkmcnt(0)
	v_add_f32_e32 v37, v123, v37
	v_cmp_ngt_f32_e64 s9, 0x3f200000, |v37|
	s_and_saveexec_b32 s10, s9
	s_xor_b32 s9, exec_lo, s10
	s_cbranch_execz .LBB31_30
; %bb.29:                               ;   in Loop: Header=BB31_22 Depth=1
	v_add_f32_e64 v38, |v37|, |v37|
	v_mul_f32_e32 v39, 0x3fb8aa3b, v38
	v_cmp_ngt_f32_e32 vcc_lo, 0xc2ce8ed0, v38
	v_rndne_f32_e32 v40, v39
	v_fma_f32 v41, 0x3fb8aa3b, v38, -v39
	v_sub_f32_e32 v39, v39, v40
	v_fmac_f32_e32 v41, 0x32a5705f, v38
	v_cvt_i32_f32_e32 v40, v40
	v_add_f32_e32 v39, v39, v41
	v_exp_f32_e32 v39, v39
	v_ldexp_f32 v39, v39, v40
	v_cndmask_b32_e32 v39, 0, v39, vcc_lo
	v_cmp_nlt_f32_e32 vcc_lo, 0x42b17218, v38
	v_cndmask_b32_e32 v38, 0x7f800000, v39, vcc_lo
	v_add_f32_e32 v38, 1.0, v38
	v_rcp_f32_e32 v38, v38
	v_fma_f32 v38, v38, -2.0, 1.0
.LBB31_30:                              ;   in Loop: Header=BB31_22 Depth=1
	s_andn2_saveexec_b32 s9, s9
	s_cbranch_execz .LBB31_32
; %bb.31:                               ;   in Loop: Header=BB31_22 Depth=1
	v_mul_f32_e32 v38, v37, v37
	v_fmaak_f32 v39, s8, v38, 0x3ca908c9
	v_fmaak_f32 v39, v38, v39, 0xbd5c1c4e
	;; [unrolled: 1-line block ×4, first 2 shown]
	v_mul_f32_e64 v39, |v37|, v39
	v_fma_f32 v38, v38, v39, |v37|
.LBB31_32:                              ;   in Loop: Header=BB31_22 Depth=1
	s_or_b32 exec_lo, exec_lo, s9
	v_bfi_b32 v37, 0x7fffffff, v38, v37
	s_andn2_b32 vcc_lo, exec_lo, s86
	v_mul_f32_e32 v37, s75, v37
	s_cbranch_vccnz .LBB31_34
; %bb.33:                               ;   in Loop: Header=BB31_22 Depth=1
	buffer_load_dword v0, off, s[96:99], 0 offset:236 ; 4-byte Folded Reload
	s_waitcnt vmcnt(0)
	v_add_co_u32 v38, vcc_lo, v0, s65
	buffer_load_dword v0, off, s[96:99], 0 offset:240 ; 4-byte Folded Reload
	s_waitcnt vmcnt(0)
	v_add_co_ci_u32_e64 v39, null, s67, v0, vcc_lo
	global_load_ushort v38, v[38:39], off
	buffer_load_dword v39, off, s[96:99], 0 offset:244 ; 4-byte Folded Reload
	s_waitcnt vmcnt(0)
	v_fma_mix_f32 v37, v39, v38, v37 op_sel_hi:[0,1,0]
.LBB31_34:                              ;   in Loop: Header=BB31_22 Depth=1
	buffer_load_dword v0, off, s[96:99], 0 offset:4 ; 4-byte Folded Reload
	v_mov_b32_e32 v216, 0
	v_mov_b32_e32 v218, 0
	v_mov_b32_e32 v219, 0
	v_mov_b32_e32 v222, 0
	v_mov_b32_e32 v223, 0
	v_mov_b32_e32 v224, 0
	v_mov_b32_e32 v235, 0
	v_mov_b32_e32 v236, 0
	v_mov_b32_e32 v237, 0
	v_mov_b32_e32 v238, 0
	v_mov_b32_e32 v239, 0
	v_mov_b32_e32 v240, 0
	v_mov_b32_e32 v241, 0
	v_mov_b32_e32 v242, 0
	v_mov_b32_e32 v243, 0
	v_mov_b32_e32 v244, 0
	v_mov_b32_e32 v245, 0
	v_mov_b32_e32 v246, 0
	v_mov_b32_e32 v247, 0
	v_mov_b32_e32 v248, 0
	v_mov_b32_e32 v249, 0
	v_mov_b32_e32 v250, 0
	v_mov_b32_e32 v251, 0
	v_mov_b32_e32 v252, 0
	v_mov_b32_e32 v253, 0
	v_mov_b32_e32 v254, 0
	v_mov_b32_e32 v255, 0
	v_mov_b32_e32 v122, 0
	v_mov_b32_e32 v124, 0
	v_mov_b32_e32 v128, 0
	s_waitcnt vmcnt(0)
	v_add_co_u32 v38, vcc_lo, v0, s3
	buffer_load_dword v0, off, s[96:99], 0 offset:8 ; 4-byte Folded Reload
	s_waitcnt vmcnt(0)
	v_add_co_ci_u32_e64 v39, null, 0, v0, vcc_lo
	s_clause 0x8
	global_load_dword v42, v[38:39], off offset:2
	global_load_dword v49, v[38:39], off offset:10
	;; [unrolled: 1-line block ×9, first 2 shown]
	buffer_load_dword v0, off, s[96:99], 0 offset:20 ; 4-byte Folded Reload
	s_waitcnt vmcnt(9)
	v_and_b32_e32 v227, 0xf0f0f0f, v42
	s_waitcnt vmcnt(8)
	v_and_b32_e32 v225, 0xf0f0f0f, v49
	v_lshrrev_b32_e32 v226, 4, v49
	s_waitcnt vmcnt(7)
	v_and_b32_e32 v221, 0xf0f0f0f, v50
	v_lshrrev_b32_e32 v228, 4, v50
	v_lshrrev_b32_e32 v42, 4, v42
	s_waitcnt vmcnt(6)
	v_and_b32_e32 v220, 0xf0f0f0f, v51
	v_and_b32_e32 v230, 0xf0f0f0f, v226
	v_lshrrev_b32_e32 v51, 4, v51
	s_waitcnt vmcnt(0)
	v_add_co_u32 v47, vcc_lo, v0, s3
	buffer_load_dword v0, off, s[96:99], 0 offset:24 ; 4-byte Folded Reload
	v_and_b32_e32 v231, 0xf0f0f0f, v42
	v_and_b32_e32 v229, 0xf0f0f0f, v228
	;; [unrolled: 1-line block ×5, first 2 shown]
	v_lshrrev_b32_e32 v52, 4, v52
	v_lshrrev_b32_e32 v53, 4, v53
	v_and_b32_e32 v213, 0xf0f0f0f, v120
	v_and_b32_e32 v210, 0xf0f0f0f, v121
	v_lshrrev_b32_e32 v120, 4, v120
	v_and_b32_e32 v226, 0xf0f0f0f, v52
	v_lshrrev_b32_e32 v121, 4, v121
	s_waitcnt vmcnt(0)
	v_add_co_ci_u32_e64 v48, null, 0, v0, vcc_lo
	global_load_dword v209, v[38:39], off offset:82
	s_clause 0x1
	global_load_ushort v40, v[47:48], off
	global_load_ushort v41, v[47:48], off offset:18
	s_clause 0x1
	global_load_dword v211, v[38:39], off offset:92
	global_load_dword v212, v[38:39], off offset:100
	s_clause 0x1
	global_load_ushort v45, v[47:48], off offset:36
	global_load_ushort v43, v[47:48], off offset:54
	s_clause 0x1
	global_load_dword v214, v[38:39], off offset:110
	global_load_dword v232, v[38:39], off offset:118
	s_clause 0x1
	global_load_ushort v46, v[47:48], off offset:72
	;; [unrolled: 6-line block ×3, first 2 shown]
	global_load_ushort v38, v[47:48], off offset:126
	s_clause 0x3
	buffer_load_dword v49, off, s[96:99], 0 offset:248
	buffer_load_dword v50, off, s[96:99], 0 offset:252
	;; [unrolled: 1-line block ×4, first 2 shown]
	v_mov_b32_e32 v47, 0
	v_mov_b32_e32 v48, 0
	s_waitcnt vmcnt(3)
	v_dot4c_i32_i8 v47, v227, v49
	s_waitcnt vmcnt(1)
	v_dot4c_i32_i8 v216, v231, v0
	s_waitcnt vmcnt(0)
	v_dot4c_i32_i8 v218, v230, v1
	s_clause 0x1
	buffer_load_dword v0, off, s[96:99], 0 offset:264
	buffer_load_dword v1, off, s[96:99], 0 offset:268
	v_dot4c_i32_i8 v48, v225, v50
	v_cvt_f32_i32_e32 v42, v47
	v_and_b32_e32 v49, 0xf0f0f0f, v123
	v_and_b32_e32 v50, 0xf0f0f0f, v209
	v_lshrrev_b32_e32 v123, 4, v123
	v_cvt_f32_i32_e32 v47, v48
	v_fma_f32 v42, v2, v42, -v3
	v_cvt_f32_i32_e32 v48, v216
	v_cvt_f32_i32_e32 v216, v218
	v_lshrrev_b32_e32 v209, 4, v209
	v_fma_f32 v47, v2, v47, -v3
	v_fma_mix_f32 v42, v42, v40, 0 op_sel_hi:[0,1,0]
	v_fma_f32 v48, v2, v48, -v3
	v_fma_f32 v216, v2, v216, -v3
	v_and_b32_e32 v218, 0xf0f0f0f, v209
	v_fma_mix_f32 v42, v47, v40, v42 op_sel_hi:[0,1,0]
	v_fma_mix_f32 v42, v48, v40, v42 op_sel_hi:[0,1,0]
	;; [unrolled: 1-line block ×3, first 2 shown]
	s_waitcnt vmcnt(1)
	v_dot4c_i32_i8 v219, v221, v0
	s_waitcnt vmcnt(0)
	v_dot4c_i32_i8 v222, v220, v1
	s_clause 0x1
	buffer_load_dword v0, off, s[96:99], 0 offset:272
	buffer_load_dword v1, off, s[96:99], 0 offset:276
	v_cvt_f32_i32_e32 v47, v219
	v_cvt_f32_i32_e32 v48, v222
	v_and_b32_e32 v222, 0xf0f0f0f, v121
	v_and_b32_e32 v219, 0xf0f0f0f, v123
	v_fma_f32 v47, v4, v47, -v5
	v_fma_f32 v51, v4, v48, -v5
	v_and_b32_e32 v48, 0xf0f0f0f, v211
	v_lshrrev_b32_e32 v211, 4, v211
	v_fma_mix_f32 v42, v47, v41, v42 op_sel_hi:[0,1,0]
	v_fma_mix_f32 v42, v51, v41, v42 op_sel_hi:[0,1,0]
	s_waitcnt vmcnt(1)
	v_dot4c_i32_i8 v223, v229, v0
	s_waitcnt vmcnt(0)
	v_dot4c_i32_i8 v224, v228, v1
	s_clause 0x1
	buffer_load_dword v0, off, s[96:99], 0 offset:280
	buffer_load_dword v1, off, s[96:99], 0 offset:284
	v_cvt_f32_i32_e32 v216, v223
	v_cvt_f32_i32_e32 v47, v224
	v_and_b32_e32 v224, 0xf0f0f0f, v53
	v_and_b32_e32 v223, 0xf0f0f0f, v120
	v_lshrrev_b32_e32 v120, 4, v212
	v_fma_f32 v216, v4, v216, -v5
	v_fma_f32 v47, v4, v47, -v5
	v_fma_mix_f32 v42, v216, v41, v42 op_sel_hi:[0,1,0]
	v_and_b32_e32 v216, 0xf0f0f0f, v211
	v_fma_mix_f32 v42, v47, v41, v42 op_sel_hi:[0,1,0]
	s_waitcnt vmcnt(1)
	v_dot4c_i32_i8 v235, v217, v0
	s_waitcnt vmcnt(0)
	v_dot4c_i32_i8 v236, v215, v1
	s_clause 0x1
	buffer_load_dword v0, off, s[96:99], 0 offset:288
	buffer_load_dword v1, off, s[96:99], 0 offset:292
	v_cvt_f32_i32_e32 v51, v235
	v_cvt_f32_i32_e32 v52, v236
	v_fma_f32 v53, v6, v51, -v7
	v_and_b32_e32 v51, 0xf0f0f0f, v212
	v_fma_f32 v47, v6, v52, -v7
	v_fma_mix_f32 v42, v53, v45, v42 op_sel_hi:[0,1,0]
	v_fma_mix_f32 v42, v47, v45, v42 op_sel_hi:[0,1,0]
	s_waitcnt vmcnt(1)
	v_dot4c_i32_i8 v237, v226, v0
	s_waitcnt vmcnt(0)
	v_dot4c_i32_i8 v238, v224, v1
	s_clause 0x1
	buffer_load_dword v0, off, s[96:99], 0 offset:296
	buffer_load_dword v1, off, s[96:99], 0 offset:300
	v_cvt_f32_i32_e32 v52, v237
	v_cvt_f32_i32_e32 v53, v238
	v_fma_f32 v52, v6, v52, -v7
	v_fma_f32 v53, v6, v53, -v7
	v_fma_mix_f32 v42, v52, v45, v42 op_sel_hi:[0,1,0]
	v_fma_mix_f32 v42, v53, v45, v42 op_sel_hi:[0,1,0]
	v_and_b32_e32 v53, 0xf0f0f0f, v214
	s_waitcnt vmcnt(1)
	v_dot4c_i32_i8 v239, v213, v0
	s_waitcnt vmcnt(0)
	v_dot4c_i32_i8 v240, v210, v1
	s_clause 0x1
	buffer_load_dword v0, off, s[96:99], 0 offset:304
	buffer_load_dword v1, off, s[96:99], 0 offset:308
	v_cvt_f32_i32_e32 v47, v239
	v_cvt_f32_i32_e32 v52, v240
	v_fma_f32 v47, v8, v47, -v9
	v_fma_f32 v52, v8, v52, -v9
	v_fma_mix_f32 v42, v47, v43, v42 op_sel_hi:[0,1,0]
	v_fma_mix_f32 v42, v52, v43, v42 op_sel_hi:[0,1,0]
	s_waitcnt vmcnt(1)
	v_dot4c_i32_i8 v241, v223, v0
	s_waitcnt vmcnt(0)
	v_dot4c_i32_i8 v242, v222, v1
	s_clause 0x1
	buffer_load_dword v0, off, s[96:99], 0 offset:312
	buffer_load_dword v1, off, s[96:99], 0 offset:316
	v_cvt_f32_i32_e32 v121, v241
	v_cvt_f32_i32_e32 v47, v242
	v_fma_f32 v121, v8, v121, -v9
	v_fma_f32 v47, v8, v47, -v9
	v_fma_mix_f32 v42, v121, v43, v42 op_sel_hi:[0,1,0]
	v_fma_mix_f32 v42, v47, v43, v42 op_sel_hi:[0,1,0]
	s_waitcnt vmcnt(1)
	v_dot4c_i32_i8 v243, v49, v0
	s_waitcnt vmcnt(0)
	v_dot4c_i32_i8 v244, v50, v1
	s_clause 0x1
	buffer_load_dword v0, off, s[96:99], 0 offset:320
	buffer_load_dword v1, off, s[96:99], 0 offset:324
	v_cvt_f32_i32_e32 v52, v243
	v_cvt_f32_i32_e32 v121, v244
	v_fma_f32 v123, v10, v52, -v11
	v_and_b32_e32 v52, 0xf0f0f0f, v232
	v_fma_f32 v47, v10, v121, -v11
	v_fma_mix_f32 v42, v123, v46, v42 op_sel_hi:[0,1,0]
	v_lshrrev_b32_e32 v123, 4, v214
	v_and_b32_e32 v214, 0xf0f0f0f, v120
	v_fma_mix_f32 v42, v47, v46, v42 op_sel_hi:[0,1,0]
	v_and_b32_e32 v211, 0xf0f0f0f, v123
	s_waitcnt vmcnt(1)
	v_dot4c_i32_i8 v245, v219, v0
	s_waitcnt vmcnt(0)
	v_dot4c_i32_i8 v246, v218, v1
	s_clause 0x1
	buffer_load_dword v0, off, s[96:99], 0 offset:328
	buffer_load_dword v1, off, s[96:99], 0 offset:332
	v_cvt_f32_i32_e32 v121, v245
	v_cvt_f32_i32_e32 v209, v246
	v_fma_f32 v121, v10, v121, -v11
	v_fma_f32 v209, v10, v209, -v11
	v_fma_mix_f32 v42, v121, v46, v42 op_sel_hi:[0,1,0]
	v_lshrrev_b32_e32 v121, 4, v232
	v_fma_mix_f32 v42, v209, v46, v42 op_sel_hi:[0,1,0]
	s_waitcnt vmcnt(1)
	v_dot4c_i32_i8 v247, v48, v0
	s_waitcnt vmcnt(0)
	v_dot4c_i32_i8 v248, v51, v1
	s_clause 0x1
	buffer_load_dword v0, off, s[96:99], 0 offset:336
	buffer_load_dword v1, off, s[96:99], 0 offset:340
	v_cvt_f32_i32_e32 v47, v247
	v_cvt_f32_i32_e32 v120, v248
	v_fma_f32 v47, v12, v47, -v13
	v_fma_f32 v120, v12, v120, -v13
	v_fma_mix_f32 v42, v47, v44, v42 op_sel_hi:[0,1,0]
	v_and_b32_e32 v47, 0xf0f0f0f, v233
	v_fma_mix_f32 v42, v120, v44, v42 op_sel_hi:[0,1,0]
	s_waitcnt vmcnt(1)
	v_dot4c_i32_i8 v249, v216, v0
	s_waitcnt vmcnt(0)
	v_dot4c_i32_i8 v250, v214, v1
	s_clause 0x1
	buffer_load_dword v0, off, s[96:99], 0 offset:344
	buffer_load_dword v1, off, s[96:99], 0 offset:348
	v_cvt_f32_i32_e32 v209, v249
	v_cvt_f32_i32_e32 v212, v250
	v_fma_f32 v209, v12, v209, -v13
	v_fma_f32 v123, v12, v212, -v13
	v_and_b32_e32 v212, 0xf0f0f0f, v121
	v_and_b32_e32 v121, 0xf0f0f0f, v234
	v_fma_mix_f32 v42, v209, v44, v42 op_sel_hi:[0,1,0]
	v_fma_mix_f32 v42, v123, v44, v42 op_sel_hi:[0,1,0]
	s_waitcnt vmcnt(1)
	v_dot4c_i32_i8 v251, v53, v0
	s_waitcnt vmcnt(0)
	v_dot4c_i32_i8 v252, v52, v1
	s_clause 0x1
	buffer_load_dword v0, off, s[96:99], 0 offset:352
	buffer_load_dword v1, off, s[96:99], 0 offset:356
	v_cvt_f32_i32_e32 v120, v251
	v_cvt_f32_i32_e32 v209, v252
	v_fma_f32 v120, v14, v120, -v15
	v_fma_f32 v123, v14, v209, -v15
	v_fma_mix_f32 v42, v120, v39, v42 op_sel_hi:[0,1,0]
	v_lshrrev_b32_e32 v120, 4, v233
	v_fma_mix_f32 v42, v123, v39, v42 op_sel_hi:[0,1,0]
	v_lshrrev_b32_e32 v123, 4, v234
	s_waitcnt vmcnt(1)
	v_dot4c_i32_i8 v253, v211, v0
	s_waitcnt vmcnt(0)
	v_dot4c_i32_i8 v254, v212, v1
	s_clause 0x1
	buffer_load_dword v0, off, s[96:99], 0 offset:360
	buffer_load_dword v1, off, s[96:99], 0 offset:364
	v_cvt_f32_i32_e32 v209, v253
	v_cvt_f32_i32_e32 v232, v254
	v_fma_f32 v209, v14, v209, -v15
	v_fma_f32 v232, v14, v232, -v15
	v_fma_mix_f32 v42, v209, v39, v42 op_sel_hi:[0,1,0]
	v_and_b32_e32 v209, 0xf0f0f0f, v120
	v_and_b32_e32 v120, 0xf0f0f0f, v123
	v_fma_mix_f32 v42, v232, v39, v42 op_sel_hi:[0,1,0]
                                        ; implicit-def: $vgpr232
	s_waitcnt vmcnt(1)
	v_dot4c_i32_i8 v255, v47, v0
	s_waitcnt vmcnt(0)
	v_dot4c_i32_i8 v122, v121, v1
	s_clause 0x1
	buffer_load_dword v0, off, s[96:99], 0 offset:368
	buffer_load_dword v1, off, s[96:99], 0 offset:372
	v_cvt_f32_i32_e32 v233, v255
	v_cvt_f32_i32_e32 v122, v122
	v_fma_f32 v123, v16, v233, -v17
	v_fma_f32 v122, v16, v122, -v17
	v_fma_mix_f32 v42, v123, v38, v42 op_sel_hi:[0,1,0]
	v_fma_mix_f32 v42, v122, v38, v42 op_sel_hi:[0,1,0]
	s_waitcnt vmcnt(1)
	v_dot4c_i32_i8 v124, v209, v0
	s_waitcnt vmcnt(0)
	v_dot4c_i32_i8 v128, v120, v1
	v_cvt_f32_i32_e32 v123, v124
	v_cvt_f32_i32_e32 v124, v128
	v_fma_f32 v122, v16, v123, -v17
	v_fma_f32 v123, v16, v124, -v17
	v_fma_mix_f32 v42, v122, v38, v42 op_sel_hi:[0,1,0]
	v_fma_mix_f32 v42, v123, v38, v42 op_sel_hi:[0,1,0]
	ds_bpermute_b32 v122, v126, v42
	s_waitcnt lgkmcnt(0)
	v_add_f32_e32 v42, v42, v122
	v_cmp_ngt_f32_e64 s9, 0x3f200000, |v42|
	s_and_saveexec_b32 s10, s9
	s_xor_b32 s9, exec_lo, s10
	s_cbranch_execz .LBB31_36
; %bb.35:                               ;   in Loop: Header=BB31_22 Depth=1
	v_add_f32_e64 v122, |v42|, |v42|
	v_mul_f32_e32 v123, 0x3fb8aa3b, v122
	v_cmp_ngt_f32_e32 vcc_lo, 0xc2ce8ed0, v122
	v_rndne_f32_e32 v124, v123
	v_fma_f32 v128, 0x3fb8aa3b, v122, -v123
	v_sub_f32_e32 v123, v123, v124
	v_fmac_f32_e32 v128, 0x32a5705f, v122
	v_cvt_i32_f32_e32 v124, v124
	v_add_f32_e32 v123, v123, v128
	v_exp_f32_e32 v123, v123
	v_ldexp_f32 v123, v123, v124
	v_cndmask_b32_e32 v123, 0, v123, vcc_lo
	v_cmp_nlt_f32_e32 vcc_lo, 0x42b17218, v122
	v_cndmask_b32_e32 v122, 0x7f800000, v123, vcc_lo
	v_add_f32_e32 v122, 1.0, v122
	v_rcp_f32_e32 v122, v122
	v_fma_f32 v232, v122, -2.0, 1.0
.LBB31_36:                              ;   in Loop: Header=BB31_22 Depth=1
	s_or_saveexec_b32 s9, s9
	v_mov_b32_e32 v78, v125
	v_mov_b32_e32 v207, v132
	;; [unrolled: 1-line block ×15, first 2 shown]
	buffer_store_dword v72, off, s[96:99], 0 offset:920 ; 4-byte Folded Spill
	buffer_store_dword v73, off, s[96:99], 0 offset:988 ; 4-byte Folded Spill
	;; [unrolled: 1-line block ×21, first 2 shown]
	v_mov_b32_e32 v87, v93
	v_mov_b32_e32 v91, v96
	;; [unrolled: 1-line block ×4, first 2 shown]
	buffer_store_dword v101, off, s[96:99], 0 offset:1020 ; 4-byte Folded Spill
	v_mov_b32_e32 v82, v102
	v_mov_b32_e32 v96, v103
	buffer_store_dword v104, off, s[96:99], 0 offset:1024 ; 4-byte Folded Spill
	v_mov_b32_e32 v98, v105
	v_mov_b32_e32 v79, v114
	;; [unrolled: 1-line block ×3, first 2 shown]
	buffer_store_dword v108, off, s[96:99], 0 offset:1080 ; 4-byte Folded Spill
	v_mov_b32_e32 v101, v109
	v_mov_b32_e32 v76, v177
	;; [unrolled: 1-line block ×18, first 2 shown]
	buffer_store_dword v95, off, s[96:99], 0 offset:1008 ; 4-byte Folded Spill
	buffer_store_dword v97, off, s[96:99], 0 offset:1012 ; 4-byte Folded Spill
	buffer_store_dword v99, off, s[96:99], 0 offset:1016 ; 4-byte Folded Spill
	buffer_store_dword v140, off, s[96:99], 0 offset:936 ; 4-byte Folded Spill
	s_xor_b32 exec_lo, exec_lo, s9
	s_cbranch_execz .LBB31_38
; %bb.37:                               ;   in Loop: Header=BB31_22 Depth=1
	v_mul_f32_e32 v122, v42, v42
	v_fmaak_f32 v123, s8, v122, 0x3ca908c9
	v_fmaak_f32 v123, v122, v123, 0xbd5c1c4e
	;; [unrolled: 1-line block ×4, first 2 shown]
	v_mul_f32_e64 v123, |v42|, v123
	v_fma_f32 v232, v122, v123, |v42|
.LBB31_38:                              ;   in Loop: Header=BB31_22 Depth=1
	s_or_b32 exec_lo, exec_lo, s9
	v_bfi_b32 v42, 0x7fffffff, v232, v42
	s_andn2_b32 vcc_lo, exec_lo, s85
	buffer_store_dword v57, off, s[96:99], 0 offset:828 ; 4-byte Folded Spill
	buffer_store_dword v94, off, s[96:99], 0 offset:872 ; 4-byte Folded Spill
	buffer_store_dword v76, off, s[96:99], 0 offset:876 ; 4-byte Folded Spill
	v_mul_f32_e32 v42, s75, v42
	s_cbranch_vccnz .LBB31_40
; %bb.39:                               ;   in Loop: Header=BB31_22 Depth=1
	s_clause 0x1
	buffer_load_dword v0, off, s[96:99], 0 offset:12
	buffer_load_dword v123, off, s[96:99], 0 offset:244
	s_waitcnt vmcnt(1)
	v_add_co_u32 v232, vcc_lo, v0, s65
	buffer_load_dword v0, off, s[96:99], 0 offset:16 ; 4-byte Folded Reload
	s_waitcnt vmcnt(0)
	v_add_co_ci_u32_e64 v233, null, s67, v0, vcc_lo
	global_load_ushort v122, v[232:233], off
	s_waitcnt vmcnt(0)
	v_fma_mix_f32 v42, v123, v122, v42 op_sel_hi:[0,1,0]
.LBB31_40:                              ;   in Loop: Header=BB31_22 Depth=1
	s_clause 0x1
	buffer_load_dword v0, off, s[96:99], 0 offset:376
	buffer_load_dword v1, off, s[96:99], 0 offset:380
	v_mov_b32_e32 v122, 0
	v_mov_b32_e32 v123, 0
	;; [unrolled: 1-line block ×4, first 2 shown]
	v_cvt_f32_f16_e32 v40, v40
	v_cvt_f32_f16_e32 v41, v41
	;; [unrolled: 1-line block ×8, first 2 shown]
	s_waitcnt vmcnt(1)
	v_dot4c_i32_i8 v122, v227, v0
	s_waitcnt vmcnt(0)
	v_dot4c_i32_i8 v123, v225, v1
	s_clause 0x1
	buffer_load_dword v0, off, s[96:99], 0 offset:384
	buffer_load_dword v1, off, s[96:99], 0 offset:388
	v_mov_b32_e32 v225, 0
	v_mov_b32_e32 v227, 0
	v_cvt_f32_i32_e32 v122, v122
	v_cvt_f32_i32_e32 v123, v123
	v_fma_f32 v122, v18, v122, -v19
	v_fma_f32 v123, v18, v123, -v19
	v_fma_f32 v122, v122, v40, 0
	v_fmac_f32_e32 v122, v123, v40
	v_mov_b32_e32 v123, 0
	s_waitcnt vmcnt(1)
	v_dot4c_i32_i8 v124, v231, v0
	s_waitcnt vmcnt(0)
	v_dot4c_i32_i8 v128, v230, v1
	s_clause 0x1
	buffer_load_dword v0, off, s[96:99], 0 offset:392
	buffer_load_dword v1, off, s[96:99], 0 offset:396
	v_cvt_f32_i32_e32 v124, v124
	v_cvt_f32_i32_e32 v128, v128
	v_fma_f32 v124, v18, v124, -v19
	v_fma_f32 v128, v18, v128, -v19
	v_fmac_f32_e32 v122, v124, v40
	v_mov_b32_e32 v124, 0
	v_fmac_f32_e32 v122, v128, v40
	v_mov_b32_e32 v40, 0
	s_waitcnt vmcnt(1)
	v_dot4c_i32_i8 v225, v221, v0
	s_waitcnt vmcnt(0)
	v_dot4c_i32_i8 v227, v220, v1
	s_clause 0x1
	buffer_load_dword v0, off, s[96:99], 0 offset:400
	buffer_load_dword v1, off, s[96:99], 0 offset:404
	v_cvt_f32_i32_e32 v220, v225
	v_cvt_f32_i32_e32 v221, v227
	v_fma_f32 v220, v20, v220, -v21
	v_fma_f32 v128, v20, v221, -v21
	v_fmac_f32_e32 v122, v220, v41
	v_mov_b32_e32 v220, 0
	;; [unrolled: 15-line block ×3, first 2 shown]
	v_fmac_f32_e32 v122, v124, v41
	v_mov_b32_e32 v41, 0
	s_waitcnt vmcnt(1)
	v_dot4c_i32_i8 v40, v217, v0
	s_waitcnt vmcnt(0)
	v_dot4c_i32_i8 v220, v215, v1
	s_clause 0x1
	buffer_load_dword v0, off, s[96:99], 0 offset:416
	buffer_load_dword v1, off, s[96:99], 0 offset:420
	v_cvt_f32_i32_e32 v40, v40
	v_cvt_f32_i32_e32 v215, v220
	v_fma_f32 v40, v22, v40, -v23
	v_fmac_f32_e32 v122, v40, v45
	v_mov_b32_e32 v40, 0
	s_waitcnt vmcnt(1)
	v_dot4c_i32_i8 v128, v226, v0
	s_waitcnt vmcnt(0)
	v_dot4c_i32_i8 v123, v224, v1
	s_clause 0x1
	buffer_load_dword v0, off, s[96:99], 0 offset:424
	buffer_load_dword v1, off, s[96:99], 0 offset:428
	v_cvt_f32_i32_e32 v124, v128
	v_fma_f32 v128, v22, v215, -v23
	v_cvt_f32_i32_e32 v123, v123
	v_fma_f32 v124, v22, v124, -v23
	v_fmac_f32_e32 v122, v128, v45
	v_mov_b32_e32 v128, 0
	v_fma_f32 v123, v22, v123, -v23
	v_fmac_f32_e32 v122, v124, v45
	v_mov_b32_e32 v124, 0
	v_fmac_f32_e32 v122, v123, v45
	v_mov_b32_e32 v45, 0
	s_waitcnt vmcnt(1)
	v_dot4c_i32_i8 v41, v213, v0
	s_waitcnt vmcnt(0)
	v_dot4c_i32_i8 v40, v210, v1
	s_clause 0x1
	buffer_load_dword v0, off, s[96:99], 0 offset:432
	buffer_load_dword v1, off, s[96:99], 0 offset:436
	v_cvt_f32_i32_e32 v41, v41
	v_cvt_f32_i32_e32 v40, v40
	v_fma_f32 v41, v24, v41, -v25
	v_fma_f32 v40, v24, v40, -v25
	v_fmac_f32_e32 v122, v41, v43
	v_mov_b32_e32 v41, 0
	v_fmac_f32_e32 v122, v40, v43
	v_mov_b32_e32 v40, 0
	s_waitcnt vmcnt(1)
	v_dot4c_i32_i8 v128, v223, v0
	s_waitcnt vmcnt(0)
	v_dot4c_i32_i8 v124, v222, v1
	s_clause 0x1
	buffer_load_dword v0, off, s[96:99], 0 offset:440
	buffer_load_dword v1, off, s[96:99], 0 offset:444
	v_cvt_f32_i32_e32 v123, v128
	v_fma_f32 v123, v24, v123, -v25
	v_fmac_f32_e32 v122, v123, v43
	s_waitcnt vmcnt(1)
	v_dot4c_i32_i8 v45, v49, v0
	s_waitcnt vmcnt(0)
	v_dot4c_i32_i8 v41, v50, v1
	s_clause 0x1
	buffer_load_dword v0, off, s[96:99], 0 offset:448
	buffer_load_dword v1, off, s[96:99], 0 offset:452
	v_mov_b32_e32 v50, 0
	v_cvt_f32_i32_e32 v49, v124
	v_cvt_f32_i32_e32 v45, v45
	;; [unrolled: 1-line block ×3, first 2 shown]
	v_fma_f32 v49, v24, v49, -v25
	v_fma_f32 v45, v26, v45, -v27
	;; [unrolled: 1-line block ×3, first 2 shown]
	v_fmac_f32_e32 v122, v49, v43
	v_mov_b32_e32 v43, 0
	v_fmac_f32_e32 v122, v45, v46
	v_mov_b32_e32 v45, 0
	;; [unrolled: 2-line block ×3, first 2 shown]
	s_waitcnt vmcnt(1)
	v_dot4c_i32_i8 v40, v219, v0
	s_waitcnt vmcnt(0)
	v_dot4c_i32_i8 v50, v218, v1
	s_clause 0x1
	buffer_load_dword v0, off, s[96:99], 0 offset:456
	buffer_load_dword v1, off, s[96:99], 0 offset:460
	v_cvt_f32_i32_e32 v40, v40
	v_fma_f32 v40, v26, v40, -v27
	v_fmac_f32_e32 v122, v40, v46
	s_waitcnt vmcnt(1)
	v_dot4c_i32_i8 v43, v48, v0
	s_waitcnt vmcnt(0)
	v_dot4c_i32_i8 v45, v51, v1
	s_clause 0x1
	buffer_load_dword v0, off, s[96:99], 0 offset:464
	buffer_load_dword v1, off, s[96:99], 0 offset:468
	v_cvt_f32_i32_e32 v48, v50
	v_cvt_f32_i32_e32 v43, v43
	;; [unrolled: 1-line block ×3, first 2 shown]
	v_mov_b32_e32 v45, 0
	v_fma_f32 v48, v26, v48, -v27
	v_fma_f32 v43, v28, v43, -v29
	;; [unrolled: 1-line block ×3, first 2 shown]
	v_fmac_f32_e32 v122, v48, v46
	v_mov_b32_e32 v46, 0
	v_fmac_f32_e32 v122, v43, v44
	v_mov_b32_e32 v43, 0
	v_fmac_f32_e32 v122, v40, v44
	s_waitcnt vmcnt(1)
	v_dot4c_i32_i8 v41, v216, v0
	s_waitcnt vmcnt(0)
	v_dot4c_i32_i8 v45, v214, v1
	s_clause 0x1
	buffer_load_dword v0, off, s[96:99], 0 offset:472
	buffer_load_dword v1, off, s[96:99], 0 offset:476
	v_cvt_f32_i32_e32 v41, v41
	v_cvt_f32_i32_e32 v40, v45
	v_fma_f32 v41, v28, v41, -v29
	v_fma_f32 v40, v28, v40, -v29
	v_fmac_f32_e32 v122, v41, v44
	v_fmac_f32_e32 v122, v40, v44
	v_mov_b32_e32 v44, 0
	s_waitcnt vmcnt(1)
	v_dot4c_i32_i8 v46, v53, v0
	s_waitcnt vmcnt(0)
	v_dot4c_i32_i8 v43, v52, v1
	s_clause 0x1
	buffer_load_dword v0, off, s[96:99], 0 offset:480
	buffer_load_dword v1, off, s[96:99], 0 offset:484
	v_cvt_f32_i32_e32 v45, v46
	v_mov_b32_e32 v46, 0
	v_cvt_f32_i32_e32 v43, v43
	v_fma_f32 v41, v30, v45, -v31
	v_mov_b32_e32 v45, 0
	v_fma_f32 v43, v30, v43, -v31
	v_fmac_f32_e32 v122, v41, v39
	v_mov_b32_e32 v41, 0
	v_fmac_f32_e32 v122, v43, v39
	v_mov_b32_e32 v43, 0
	s_waitcnt vmcnt(1)
	v_dot4c_i32_i8 v46, v211, v0
	s_waitcnt vmcnt(0)
	v_dot4c_i32_i8 v45, v212, v1
	s_clause 0x1
	buffer_load_dword v0, off, s[96:99], 0 offset:488
	buffer_load_dword v1, off, s[96:99], 0 offset:492
	v_cvt_f32_i32_e32 v40, v46
	v_cvt_f32_i32_e32 v45, v45
	v_fma_f32 v40, v30, v40, -v31
	v_fma_f32 v45, v30, v45, -v31
	v_fmac_f32_e32 v122, v40, v39
	v_fmac_f32_e32 v122, v45, v39
	s_waitcnt vmcnt(1)
	v_dot4c_i32_i8 v41, v47, v0
	s_waitcnt vmcnt(0)
	v_dot4c_i32_i8 v44, v121, v1
	s_clause 0x1
	buffer_load_dword v0, off, s[96:99], 0 offset:496
	buffer_load_dword v1, off, s[96:99], 0 offset:500
	v_cvt_f32_i32_e32 v40, v41
	v_cvt_f32_i32_e32 v41, v44
	v_fma_f32 v39, v32, v40, -v33
	v_mov_b32_e32 v40, 0
	v_fma_f32 v41, v32, v41, -v33
	v_fmac_f32_e32 v122, v39, v38
	v_fmac_f32_e32 v122, v41, v38
	s_waitcnt vmcnt(1)
	v_dot4c_i32_i8 v43, v209, v0
	s_waitcnt vmcnt(0)
	v_dot4c_i32_i8 v40, v120, v1
	v_cvt_f32_i32_e32 v43, v43
	v_cvt_f32_i32_e32 v40, v40
	v_fma_f32 v39, v32, v43, -v33
	v_fmac_f32_e32 v122, v39, v38
	v_fma_f32 v39, v32, v40, -v33
	v_fmac_f32_e32 v122, v39, v38
                                        ; implicit-def: $vgpr39
	ds_bpermute_b32 v38, v126, v122
	s_waitcnt lgkmcnt(0)
	v_add_f32_e32 v38, v122, v38
	v_cmp_ngt_f32_e64 s9, 0x3f200000, |v38|
	s_mov_b32 s10, exec_lo
	v_mov_b32_e32 v126, v149
	v_mov_b32_e32 v134, v204
	v_mov_b32_e32 v138, v159
	v_mov_b32_e32 v139, v160
	v_mov_b32_e32 v140, v161
	v_mov_b32_e32 v130, v163
	v_mov_b32_e32 v141, v164
	v_mov_b32_e32 v144, v165
	s_and_b32 s11, s10, s9
	buffer_store_dword v152, off, s[96:99], 0 offset:944 ; 4-byte Folded Spill
	buffer_store_dword v153, off, s[96:99], 0 offset:940 ; 4-byte Folded Spill
	s_xor_b32 s9, s11, s10
	buffer_store_dword v197, off, s[96:99], 0 offset:1028 ; 4-byte Folded Spill
	buffer_store_dword v167, off, s[96:99], 0 offset:1032 ; 4-byte Folded Spill
	s_mov_b32 exec_lo, s11
	s_cbranch_execz .LBB31_42
; %bb.41:                               ;   in Loop: Header=BB31_22 Depth=1
	v_add_f32_e64 v39, |v38|, |v38|
	v_mul_f32_e32 v40, 0x3fb8aa3b, v39
	v_cmp_ngt_f32_e32 vcc_lo, 0xc2ce8ed0, v39
	v_rndne_f32_e32 v41, v40
	v_fma_f32 v43, 0x3fb8aa3b, v39, -v40
	v_sub_f32_e32 v40, v40, v41
	v_fmac_f32_e32 v43, 0x32a5705f, v39
	v_cvt_i32_f32_e32 v41, v41
	v_add_f32_e32 v40, v40, v43
	v_exp_f32_e32 v40, v40
	v_ldexp_f32 v40, v40, v41
	v_cndmask_b32_e32 v40, 0, v40, vcc_lo
	v_cmp_nlt_f32_e32 vcc_lo, 0x42b17218, v39
	v_cndmask_b32_e32 v39, 0x7f800000, v40, vcc_lo
	v_add_f32_e32 v39, 1.0, v39
	v_rcp_f32_e32 v39, v39
	v_fma_f32 v39, v39, -2.0, 1.0
.LBB31_42:                              ;   in Loop: Header=BB31_22 Depth=1
	s_or_saveexec_b32 s9, s9
	buffer_store_dword v131, off, s[96:99], 0 offset:1056 ; 4-byte Folded Spill
	buffer_store_dword v169, off, s[96:99], 0 offset:1052 ; 4-byte Folded Spill
	;; [unrolled: 1-line block ×7, first 2 shown]
	v_mov_b32_e32 v230, v157
	v_mov_b32_e32 v239, v190
	;; [unrolled: 1-line block ×16, first 2 shown]
	s_clause 0x1f
	buffer_load_dword v171, off, s[96:99], 0 offset:908
	buffer_load_dword v190, off, s[96:99], 0 offset:904
	;; [unrolled: 1-line block ×32, first 2 shown]
	v_mov_b32_e32 v236, v168
	v_mov_b32_e32 v238, v193
	;; [unrolled: 1-line block ×5, first 2 shown]
	s_xor_b32 exec_lo, exec_lo, s9
	s_cbranch_execz .LBB31_44
; %bb.43:                               ;   in Loop: Header=BB31_22 Depth=1
	v_mul_f32_e32 v39, v38, v38
	v_fmaak_f32 v40, s8, v39, 0x3ca908c9
	v_fmaak_f32 v40, v39, v40, 0xbd5c1c4e
	;; [unrolled: 1-line block ×4, first 2 shown]
	v_mul_f32_e64 v40, |v38|, v40
	v_fma_f32 v39, v39, v40, |v38|
.LBB31_44:                              ;   in Loop: Header=BB31_22 Depth=1
	s_or_b32 exec_lo, exec_lo, s9
	v_bfi_b32 v38, 0x7fffffff, v39, v38
	s_andn2_b32 vcc_lo, exec_lo, s86
	buffer_store_dword v119, off, s[96:99], 0 ; 4-byte Folded Spill
	buffer_store_dword v82, off, s[96:99], 0 offset:916 ; 4-byte Folded Spill
	buffer_store_dword v69, off, s[96:99], 0 offset:912 ; 4-byte Folded Spill
	v_mul_f32_e32 v43, s75, v38
	s_cbranch_vccnz .LBB31_21
; %bb.45:                               ;   in Loop: Header=BB31_22 Depth=1
	v_add_co_u32 v38, vcc_lo, v78, s65
	v_add_co_ci_u32_e64 v39, null, s67, v207, vcc_lo
	global_load_ushort v38, v[38:39], off
	buffer_load_dword v39, off, s[96:99], 0 offset:244 ; 4-byte Folded Reload
	s_waitcnt vmcnt(0)
	v_fma_mix_f32 v43, v39, v38, v43 op_sel_hi:[0,1,0]
	s_branch .LBB31_21
.LBB31_46:
	s_clause 0x6
	buffer_load_dword v39, off, s[96:99], 0 offset:1276
	buffer_load_dword v36, off, s[96:99], 0 offset:1280
	;; [unrolled: 1-line block ×7, first 2 shown]
.LBB31_47:
	s_cmp_eq_u64 s[56:57], 0
	s_cselect_b32 s1, -1, 0
	s_cmp_lg_u32 s68, 0
	s_cselect_b32 s2, -1, 0
	s_or_b32 s1, s2, s1
	s_nor_b32 s0, s1, s0
	s_and_saveexec_b32 s1, s0
	s_cbranch_execz .LBB31_49
; %bb.48:
	s_ashr_i32 s73, s72, 31
	s_waitcnt vmcnt(5)
	v_cmp_eq_u32_e32 vcc_lo, 1, v36
	s_lshl_b64 s[2:3], s[72:73], 2
	v_lshl_add_u32 v9, v36, 4, v127
	s_add_u32 s2, s56, s2
	s_addc_u32 s3, s57, s3
	v_cndmask_b32_e32 v0, v42, v43, vcc_lo
	s_load_dword s0, s[2:3], 0x0
	v_max_f32_e32 v1, v0, v0
	s_waitcnt lgkmcnt(0)
	v_max_f32_e64 v2, s0, s0
	v_max_f32_e32 v4, v1, v2
	v_sub_f32_e32 v5, v0, v4
	v_sub_f32_e32 v6, s0, v4
	v_cndmask_b32_e32 v43, v43, v4, vcc_lo
	v_mul_f32_e32 v0, 0x3fb8aa3b, v5
	v_mul_f32_e32 v1, 0x3fb8aa3b, v6
	v_cmp_ngt_f32_e64 s0, 0xc2ce8ed0, v5
	v_fma_f32 v2, 0x3fb8aa3b, v5, -v0
	v_rndne_f32_e32 v3, v0
	v_fma_f32 v7, 0x3fb8aa3b, v6, -v1
	v_rndne_f32_e32 v8, v1
	v_fmac_f32_e32 v2, 0x32a5705f, v5
	v_sub_f32_e32 v0, v0, v3
	v_fmac_f32_e32 v7, 0x32a5705f, v6
	v_sub_f32_e32 v1, v1, v8
	v_cvt_i32_f32_e32 v8, v8
	v_add_f32_e32 v0, v0, v2
	v_add_f32_e32 v1, v1, v7
	v_exp_f32_e32 v0, v0
	v_exp_f32_e32 v7, v1
	v_cvt_i32_f32_e32 v1, v3
	v_ldexp_f32 v10, v0, v1
	ds_read_b128 v[0:3], v9
	v_ldexp_f32 v7, v7, v8
	v_cndmask_b32_e64 v8, 0, v10, s0
	v_cmp_ngt_f32_e64 s0, 0xc2ce8ed0, v6
	s_waitcnt vmcnt(0)
	v_cndmask_b32_e32 v10, v40, v41, vcc_lo
	v_cndmask_b32_e64 v7, 0, v7, s0
	v_cmp_nlt_f32_e64 s0, 0x42b17218, v5
	v_cndmask_b32_e64 v5, 0x7f800000, v8, s0
	v_cmp_nlt_f32_e64 s0, 0x42b17218, v6
	v_mov_b32_e32 v8, 0x10001
	v_cndmask_b32_e64 v6, 0x7f800000, v7, s0
	v_cmp_eq_u32_e64 s0, 0, v39
	v_cvt_f16_f32_e32 v7, v5
	v_cndmask_b32_e64 v6, 0, v6, s0
	v_mul_u32_u24_sdwa v7, v7, v8 dst_sel:DWORD dst_unused:UNUSED_PAD src0_sel:WORD_0 src1_sel:DWORD
	v_cmp_eq_u32_e64 s0, 0, v36
	v_fmac_f32_e32 v6, v10, v5
	s_waitcnt lgkmcnt(0)
	v_pk_mul_f16 v0, v0, v7
	v_cndmask_b32_e64 v42, v42, v4, s0
	v_pk_mul_f16 v1, v1, v7
	v_pk_mul_f16 v2, v2, v7
	;; [unrolled: 1-line block ×3, first 2 shown]
	v_cndmask_b32_e32 v41, v41, v6, vcc_lo
	v_cndmask_b32_e64 v40, v40, v6, s0
	ds_write_b128 v9, v[0:3]
.LBB31_49:
	s_or_b32 exec_lo, exec_lo, s1
	s_waitcnt vmcnt(3)
	v_add_nc_u32_e32 v0, 0x900, v38
	v_or_b32_e32 v8, 0x800, v38
	s_mov_b32 s0, exec_lo
	v_cmpx_eq_u32_e32 0, v36
	s_cbranch_execz .LBB31_51
; %bb.50:
	v_mov_b32_e32 v1, 0xfeffffff
	v_mov_b32_e32 v2, 0
	ds_write2_b32 v8, v1, v1 offset1:32
	ds_write2_b32 v0, v2, v2 offset1:32
.LBB31_51:
	s_or_b32 exec_lo, exec_lo, s0
	v_cmp_eq_u32_e64 s0, 0, v39
	s_waitcnt vmcnt(0) lgkmcnt(0)
	s_waitcnt_vscnt null, 0x0
	s_barrier
	buffer_gl0_inv
	s_and_saveexec_b32 s1, s0
; %bb.52:
	v_lshlrev_b32_e32 v1, 2, v36
	v_add_nc_u32_e32 v1, 0x800, v1
	ds_write2_b32 v1, v42, v43 offset1:32
; %bb.53:
	s_or_b32 exec_lo, exec_lo, s1
	s_cmp_lt_i32 s74, s70
	s_waitcnt lgkmcnt(0)
	s_barrier
	buffer_gl0_inv
	s_cbranch_scc1 .LBB31_55
; %bb.54:
	s_load_dword s3, s[6:7], 0xd4
	s_cbranch_execz .LBB31_56
	s_branch .LBB31_63
.LBB31_55:
                                        ; implicit-def: $sgpr3
.LBB31_56:
	v_mbcnt_lo_u32_b32 v9, -1, 0
	ds_read_b32 v2, v8
	s_waitcnt lgkmcnt(0)
	s_load_dword s3, s[6:7], 0xd4
	v_lshlrev_b32_e32 v20, 3, v39
	v_xor_b32_e32 v1, 16, v9
	v_xor_b32_e32 v4, 8, v9
	;; [unrolled: 1-line block ×4, first 2 shown]
	v_cmp_gt_i32_e32 vcc_lo, 32, v1
	v_cndmask_b32_e32 v1, v9, v1, vcc_lo
	v_cmp_gt_i32_e32 vcc_lo, 32, v4
	v_lshlrev_b32_e32 v1, 2, v1
	v_cndmask_b32_e32 v4, v9, v4, vcc_lo
	v_cmp_gt_i32_e32 vcc_lo, 32, v5
	ds_bpermute_b32 v3, v1, v2
	v_max_f32_e32 v2, v2, v2
	v_lshlrev_b32_e32 v4, 2, v4
	v_cndmask_b32_e32 v5, v9, v5, vcc_lo
	v_cmp_gt_i32_e32 vcc_lo, 32, v6
	v_lshlrev_b32_e32 v5, 2, v5
	v_cndmask_b32_e32 v6, v9, v6, vcc_lo
	v_lshlrev_b32_e32 v7, 2, v6
	v_xor_b32_e32 v6, 1, v9
	v_cmp_gt_i32_e32 vcc_lo, 32, v6
	s_waitcnt lgkmcnt(0)
	v_max_f32_e32 v3, v3, v3
	v_cndmask_b32_e32 v6, v9, v6, vcc_lo
	v_max_f32_e32 v2, v2, v3
	v_lshlrev_b32_e32 v6, 2, v6
	ds_bpermute_b32 v3, v4, v2
	s_waitcnt lgkmcnt(0)
	v_max_f32_e32 v3, v3, v3
	v_max_f32_e32 v2, v2, v3
	ds_bpermute_b32 v3, v5, v2
	s_waitcnt lgkmcnt(0)
	v_max_f32_e32 v3, v3, v3
	v_max_f32_e32 v2, v2, v3
	;; [unrolled: 4-line block ×4, first 2 shown]
	v_sub_f32_e32 v3, v42, v2
	v_mul_f32_e32 v9, 0x3fb8aa3b, v3
	v_cmp_ngt_f32_e32 vcc_lo, 0xc2ce8ed0, v3
	v_fma_f32 v10, 0x3fb8aa3b, v3, -v9
	v_rndne_f32_e32 v11, v9
	v_fmamk_f32 v10, v3, 0x32a5705f, v10
	v_sub_f32_e32 v9, v9, v11
	v_add_f32_e32 v9, v9, v10
	v_cvt_i32_f32_e32 v10, v11
	v_exp_f32_e32 v9, v9
	v_ldexp_f32 v9, v9, v10
	v_cndmask_b32_e32 v9, 0, v9, vcc_lo
	v_cmp_nlt_f32_e32 vcc_lo, 0x42b17218, v3
	v_cndmask_b32_e32 v3, 0x7f800000, v9, vcc_lo
	v_mul_f32_e32 v9, v3, v40
	ds_bpermute_b32 v9, v1, v9
	s_waitcnt lgkmcnt(0)
	v_fmac_f32_e32 v9, v3, v40
	v_cvt_f16_f32_e32 v3, v3
	ds_bpermute_b32 v10, v4, v9
	s_waitcnt lgkmcnt(0)
	v_add_f32_e32 v9, v9, v10
	ds_bpermute_b32 v10, v5, v9
	s_waitcnt lgkmcnt(0)
	v_add_f32_e32 v9, v9, v10
	ds_read_b128 v[10:13], v127
	ds_bpermute_b32 v14, v7, v9
	s_waitcnt lgkmcnt(0)
	v_add_f32_e32 v18, v9, v14
	v_mov_b32_e32 v9, 0x10001
	ds_bpermute_b32 v19, v6, v18
	v_mul_u32_u24_sdwa v3, v3, v9 dst_sel:DWORD dst_unused:UNUSED_PAD src0_sel:WORD_0 src1_sel:DWORD
	v_lshl_add_u32 v9, v36, 2, 0x900
	v_pk_mul_f16 v14, v10, v3
	v_pk_mul_f16 v15, v11, v3
	;; [unrolled: 1-line block ×4, first 2 shown]
	v_add_nc_u32_e32 v10, v37, v20
	ds_write_b128 v127, v[14:17]
	ds_write2_b64 v10, v[14:15], v[16:17] offset1:32
	s_waitcnt lgkmcnt(2)
	v_add_f32_e32 v3, v18, v19
	s_and_saveexec_b32 s1, s0
; %bb.57:
	ds_write_b32 v9, v3
; %bb.58:
	s_or_b32 exec_lo, exec_lo, s1
	s_waitcnt lgkmcnt(0)
	s_barrier
	buffer_gl0_inv
	buffer_load_dword v19, off, s[96:99], 0 offset:1116 ; 4-byte Folded Reload
	ds_read_b32 v3, v0
	s_cmp_eq_u32 s3, 1
	s_mul_i32 s4, s69, s70
	s_cselect_b32 s1, -1, 0
	s_add_i32 s4, s4, s74
	s_waitcnt vmcnt(0)
	ds_read_u16 v11, v19
	ds_read_u16 v12, v19 offset:1280
	ds_read_u16 v13, v19 offset:768
	ds_read_u16 v14, v19 offset:256
	s_waitcnt lgkmcnt(4)
	ds_bpermute_b32 v15, v1, v3
	ds_read_u16 v16, v19 offset:512
	ds_read_u16 v17, v19 offset:1024
	;; [unrolled: 1-line block ×3, first 2 shown]
	s_mul_i32 s4, s4, s71
	s_add_i32 s4, s4, s72
	s_mul_i32 s5, s3, s4
	s_add_i32 s5, s5, s68
	s_waitcnt lgkmcnt(7)
	v_cvt_f32_f16_e32 v11, v11
	s_waitcnt lgkmcnt(6)
	v_cvt_f32_f16_e32 v12, v12
	;; [unrolled: 2-line block ×3, first 2 shown]
	v_add_f32_e32 v3, v3, v15
	v_add_f32_e32 v11, 0, v11
	s_waitcnt lgkmcnt(1)
	v_cvt_f32_f16_e32 v17, v17
	s_waitcnt lgkmcnt(0)
	v_cvt_f32_f16_e32 v18, v18
	v_cvt_f32_f16_e32 v14, v14
	ds_bpermute_b32 v15, v4, v3
	v_add_f32_e32 v11, v11, v16
	ds_read_u16 v16, v19 offset:1792
	v_add_f32_e32 v11, v11, v17
	v_add_f32_e32 v17, v11, v18
	;; [unrolled: 1-line block ×3, first 2 shown]
	s_waitcnt lgkmcnt(1)
	v_add_f32_e32 v3, v3, v15
	s_waitcnt lgkmcnt(0)
	v_cvt_f32_f16_e32 v14, v16
	ds_bpermute_b32 v15, v5, v3
	s_waitcnt lgkmcnt(0)
	v_add_f32_e32 v3, v3, v15
	ds_bpermute_b32 v15, v7, v3
	s_waitcnt lgkmcnt(0)
	v_add_f32_e32 v3, v3, v15
	ds_bpermute_b32 v15, v6, v3
	s_waitcnt lgkmcnt(0)
	v_add_f32_e32 v40, v3, v15
	v_cvt_f32_f16_e32 v3, v13
	v_div_scale_f32 v13, null, v40, v40, v17
	v_add_f32_e32 v3, v11, v3
	v_div_scale_f32 v15, vcc_lo, v17, v40, v17
	v_rcp_f32_e32 v11, v13
	v_add_f32_e32 v3, v3, v12
	v_add_f32_e32 v3, v3, v14
	v_fma_f32 v12, -v13, v11, 1.0
	v_div_scale_f32 v14, null, v40, v40, v3
	v_fmac_f32_e32 v11, v12, v11
	v_rcp_f32_e32 v16, v14
	v_mul_f32_e32 v12, v15, v11
	v_fma_f32 v18, -v13, v12, v15
	v_fma_f32 v19, -v14, v16, 1.0
	v_fmac_f32_e32 v12, v18, v11
	v_div_scale_f32 v18, s2, v3, v40, v3
	v_fmac_f32_e32 v16, v19, v16
	v_fma_f32 v13, -v13, v12, v15
	v_mul_f32_e32 v15, v18, v16
	v_div_fmas_f32 v11, v13, v11, v12
	s_mov_b32 vcc_lo, s2
	s_or_b32 s2, s74, 1
	v_fma_f32 v12, -v14, v15, v18
	s_cmp_ge_i32 s2, s70
	v_div_fixup_f32 v13, v11, v40, v17
	v_lshl_or_b32 v11, s5, 8, v34
	v_fmac_f32_e32 v15, v12, v16
	v_mov_b32_e32 v12, 0
	v_cndmask_b32_e64 v13, v17, v13, s1
	v_fma_f32 v14, -v14, v15, v18
	v_lshlrev_b64 v[11:12], 2, v[11:12]
	v_div_fmas_f32 v14, v14, v16, v15
	v_add_co_u32 v11, vcc_lo, s60, v11
	v_add_co_ci_u32_e64 v12, null, s61, v12, vcc_lo
	v_div_fixup_f32 v14, v14, v40, v3
	v_cndmask_b32_e64 v14, v3, v14, s1
	v_mov_b32_e32 v3, v43
	global_store_dword v[11:12], v13, off
	global_store_dword v[11:12], v14, off offset:512
	s_waitcnt_vscnt null, 0x0
	s_barrier
	buffer_gl0_inv
	s_cbranch_scc1 .LBB31_62
; %bb.59:
	ds_read_b32 v3, v8 offset:128
	v_mov_b32_e32 v17, 0x10001
	s_waitcnt lgkmcnt(0)
	ds_bpermute_b32 v8, v1, v3
	v_max_f32_e32 v3, v3, v3
	s_waitcnt lgkmcnt(0)
	v_max_f32_e32 v8, v8, v8
	v_max_f32_e32 v3, v3, v8
	ds_bpermute_b32 v8, v4, v3
	s_waitcnt lgkmcnt(0)
	v_max_f32_e32 v8, v8, v8
	v_max_f32_e32 v3, v3, v8
	ds_bpermute_b32 v8, v5, v3
	;; [unrolled: 4-line block ×4, first 2 shown]
	s_waitcnt lgkmcnt(0)
	v_max_f32_e32 v8, v8, v8
	v_max_f32_e32 v3, v3, v8
	v_sub_f32_e32 v8, v43, v3
	v_mul_f32_e32 v11, 0x3fb8aa3b, v8
	v_cmp_ngt_f32_e32 vcc_lo, 0xc2ce8ed0, v8
	v_fma_f32 v12, 0x3fb8aa3b, v8, -v11
	v_rndne_f32_e32 v13, v11
	v_fmamk_f32 v12, v8, 0x32a5705f, v12
	v_sub_f32_e32 v11, v11, v13
	v_add_f32_e32 v11, v11, v12
	v_cvt_i32_f32_e32 v12, v13
	v_exp_f32_e32 v11, v11
	v_ldexp_f32 v11, v11, v12
	v_cndmask_b32_e32 v11, 0, v11, vcc_lo
	v_cmp_nlt_f32_e32 vcc_lo, 0x42b17218, v8
	v_cndmask_b32_e32 v8, 0x7f800000, v11, vcc_lo
	v_mul_f32_e32 v11, v8, v41
	ds_bpermute_b32 v11, v1, v11
	s_waitcnt lgkmcnt(0)
	v_fmac_f32_e32 v11, v8, v41
	v_cvt_f16_f32_e32 v8, v8
	ds_bpermute_b32 v12, v4, v11
	v_mul_u32_u24_sdwa v8, v8, v17 dst_sel:DWORD dst_unused:UNUSED_PAD src0_sel:WORD_0 src1_sel:DWORD
	s_waitcnt lgkmcnt(0)
	v_add_f32_e32 v11, v11, v12
	ds_bpermute_b32 v12, v5, v11
	s_waitcnt lgkmcnt(0)
	v_add_f32_e32 v15, v11, v12
	ds_read_b128 v[11:14], v127 offset:16
	ds_bpermute_b32 v16, v7, v15
	s_waitcnt lgkmcnt(1)
	v_pk_mul_f16 v11, v11, v8
	v_pk_mul_f16 v12, v12, v8
	;; [unrolled: 1-line block ×4, first 2 shown]
	s_waitcnt lgkmcnt(0)
	v_add_f32_e32 v15, v15, v16
	ds_write_b128 v127, v[11:14] offset:16
	ds_write2_b64 v10, v[11:12], v[13:14] offset1:32
	ds_bpermute_b32 v16, v6, v15
	s_waitcnt lgkmcnt(0)
	v_add_f32_e32 v8, v15, v16
	s_and_saveexec_b32 s2, s0
; %bb.60:
	ds_write_b32 v9, v8 offset:128
; %bb.61:
	s_or_b32 exec_lo, exec_lo, s2
	s_waitcnt lgkmcnt(0)
	s_barrier
	buffer_gl0_inv
	buffer_load_dword v12, off, s[96:99], 0 offset:1116 ; 4-byte Folded Reload
	ds_read_b32 v0, v0 offset:128
	s_add_i32 s4, s4, s71
	s_waitcnt vmcnt(0)
	ds_read_u16 v8, v12
	ds_read_u16 v9, v12 offset:1280
	ds_read_u16 v10, v12 offset:768
	;; [unrolled: 1-line block ×3, first 2 shown]
	s_waitcnt lgkmcnt(4)
	ds_bpermute_b32 v1, v1, v0
	s_mul_i32 s2, s3, s4
	s_add_i32 s2, s2, s68
	s_waitcnt lgkmcnt(4)
	v_cvt_f32_f16_e32 v8, v8
	s_waitcnt lgkmcnt(2)
	v_cvt_f32_f16_e32 v10, v10
	s_waitcnt lgkmcnt(1)
	v_cvt_f32_f16_e32 v11, v11
	s_waitcnt lgkmcnt(0)
	v_add_f32_e32 v0, v0, v1
	v_add_f32_e32 v8, 0, v8
	;; [unrolled: 1-line block ×3, first 2 shown]
	ds_bpermute_b32 v1, v4, v0
	s_waitcnt lgkmcnt(0)
	v_add_f32_e32 v0, v0, v1
	ds_bpermute_b32 v1, v5, v0
	s_waitcnt lgkmcnt(0)
	v_add_f32_e32 v0, v0, v1
	ds_bpermute_b32 v1, v7, v0
	ds_read_u16 v4, v12 offset:512
	ds_read_u16 v5, v12 offset:1024
	;; [unrolled: 1-line block ×3, first 2 shown]
	s_waitcnt lgkmcnt(2)
	v_cvt_f32_f16_e32 v4, v4
	v_add_f32_e32 v0, v0, v1
	ds_read_u16 v1, v12 offset:1792
	s_waitcnt lgkmcnt(2)
	v_cvt_f32_f16_e32 v5, v5
	s_waitcnt lgkmcnt(1)
	v_cvt_f32_f16_e32 v7, v7
	v_add_f32_e32 v4, v8, v4
	ds_bpermute_b32 v6, v6, v0
	v_cvt_f32_f16_e32 v8, v9
	v_add_f32_e32 v9, v11, v10
	v_add_f32_e32 v4, v4, v5
	;; [unrolled: 1-line block ×4, first 2 shown]
	s_waitcnt lgkmcnt(1)
	v_cvt_f32_f16_e32 v1, v1
	s_waitcnt lgkmcnt(0)
	v_add_f32_e32 v41, v0, v6
	v_add_f32_e32 v5, v5, v1
	v_div_scale_f32 v0, null, v41, v41, v4
	v_div_scale_f32 v6, null, v41, v41, v5
	v_div_scale_f32 v10, vcc_lo, v4, v41, v4
	v_rcp_f32_e32 v7, v0
	v_rcp_f32_e32 v8, v6
	v_div_scale_f32 v11, s0, v5, v41, v5
	v_fma_f32 v1, -v0, v7, 1.0
	v_fma_f32 v9, -v6, v8, 1.0
	v_fmac_f32_e32 v7, v1, v7
	v_fmac_f32_e32 v8, v9, v8
	v_mul_f32_e32 v9, v10, v7
	v_mul_f32_e32 v12, v11, v8
	v_fma_f32 v1, -v0, v9, v10
	v_fma_f32 v13, -v6, v12, v11
	v_fmac_f32_e32 v9, v1, v7
	v_fmac_f32_e32 v12, v13, v8
	v_mov_b32_e32 v1, 0
	v_fma_f32 v0, -v0, v9, v10
	v_fma_f32 v6, -v6, v12, v11
	v_div_fmas_f32 v7, v0, v7, v9
	v_lshl_or_b32 v0, s2, 8, v34
	s_mov_b32 vcc_lo, s0
	v_div_fmas_f32 v6, v6, v8, v12
	v_div_fixup_f32 v7, v7, v41, v4
	v_lshlrev_b64 v[0:1], 2, v[0:1]
	v_div_fixup_f32 v6, v6, v41, v5
	v_cndmask_b32_e64 v4, v4, v7, s1
	v_add_co_u32 v0, vcc_lo, s60, v0
	v_add_co_ci_u32_e64 v1, null, s61, v1, vcc_lo
	v_cndmask_b32_e64 v5, v5, v6, s1
	global_store_dword v[0:1], v4, off
	global_store_dword v[0:1], v5, off offset:512
.LBB31_62:
	v_mov_b32_e32 v43, v3
	v_mov_b32_e32 v42, v2
.LBB31_63:
	v_or_b32_e32 v0, s74, v39
	v_cmp_gt_u32_e32 vcc_lo, 2, v34
	s_waitcnt lgkmcnt(0)
	s_cmp_lg_u32 s3, 1
	s_cselect_b32 s1, -1, 0
	v_cmp_gt_i32_e64 s0, s70, v0
	s_and_b32 s1, s1, vcc_lo
	s_and_b32 s0, s1, s0
	s_and_saveexec_b32 s1, s0
	s_cbranch_execz .LBB31_65
; %bb.64:
	v_mad_u64_u32 v[0:1], null, s69, s70, v[0:1]
	v_cmp_eq_u32_e32 vcc_lo, 1, v34
	v_cndmask_b32_e32 v2, v42, v43, vcc_lo
	v_mad_u64_u32 v[0:1], null, v0, s71, s[72:73]
	v_cndmask_b32_e32 v3, v40, v41, vcc_lo
	v_mad_u64_u32 v[0:1], null, s3, v0, s[68:69]
	v_mov_b32_e32 v1, 0
	v_lshlrev_b64 v[0:1], 3, v[0:1]
	v_add_co_u32 v0, vcc_lo, s62, v0
	v_add_co_ci_u32_e64 v1, null, s63, v1, vcc_lo
	global_store_dwordx2 v[0:1], v[2:3], off
.LBB31_65:
	s_endpgm
	.section	.rodata,"a",@progbits
	.p2align	6, 0x0
	.amdhsa_kernel _ZL18flash_attn_ext_vecILi256ELi2EL9ggml_type2ELS0_2ELb1EEvPKcS2_S2_S2_S2_PKiPfP15HIP_vector_typeIfLj2EEffffjfiS6_IjLj3EEiiiiiiiiiiiliiliiiiil
		.amdhsa_group_segment_fixed_size 6656
		.amdhsa_private_segment_fixed_size 1300
		.amdhsa_kernarg_size 464
		.amdhsa_user_sgpr_count 8
		.amdhsa_user_sgpr_private_segment_buffer 1
		.amdhsa_user_sgpr_dispatch_ptr 1
		.amdhsa_user_sgpr_queue_ptr 0
		.amdhsa_user_sgpr_kernarg_segment_ptr 1
		.amdhsa_user_sgpr_dispatch_id 0
		.amdhsa_user_sgpr_flat_scratch_init 0
		.amdhsa_user_sgpr_private_segment_size 0
		.amdhsa_wavefront_size32 1
		.amdhsa_uses_dynamic_stack 0
		.amdhsa_system_sgpr_private_segment_wavefront_offset 1
		.amdhsa_system_sgpr_workgroup_id_x 1
		.amdhsa_system_sgpr_workgroup_id_y 1
		.amdhsa_system_sgpr_workgroup_id_z 1
		.amdhsa_system_sgpr_workgroup_info 0
		.amdhsa_system_vgpr_workitem_id 2
		.amdhsa_next_free_vgpr 256
		.amdhsa_next_free_sgpr 100
		.amdhsa_reserve_vcc 1
		.amdhsa_reserve_flat_scratch 0
		.amdhsa_float_round_mode_32 0
		.amdhsa_float_round_mode_16_64 0
		.amdhsa_float_denorm_mode_32 3
		.amdhsa_float_denorm_mode_16_64 3
		.amdhsa_dx10_clamp 1
		.amdhsa_ieee_mode 1
		.amdhsa_fp16_overflow 0
		.amdhsa_workgroup_processor_mode 1
		.amdhsa_memory_ordered 1
		.amdhsa_forward_progress 1
		.amdhsa_shared_vgpr_count 0
		.amdhsa_exception_fp_ieee_invalid_op 0
		.amdhsa_exception_fp_denorm_src 0
		.amdhsa_exception_fp_ieee_div_zero 0
		.amdhsa_exception_fp_ieee_overflow 0
		.amdhsa_exception_fp_ieee_underflow 0
		.amdhsa_exception_fp_ieee_inexact 0
		.amdhsa_exception_int_div_zero 0
	.end_amdhsa_kernel
	.section	.text._ZL18flash_attn_ext_vecILi256ELi2EL9ggml_type2ELS0_2ELb1EEvPKcS2_S2_S2_S2_PKiPfP15HIP_vector_typeIfLj2EEffffjfiS6_IjLj3EEiiiiiiiiiiiliiliiiiil,"axG",@progbits,_ZL18flash_attn_ext_vecILi256ELi2EL9ggml_type2ELS0_2ELb1EEvPKcS2_S2_S2_S2_PKiPfP15HIP_vector_typeIfLj2EEffffjfiS6_IjLj3EEiiiiiiiiiiiliiliiiiil,comdat
.Lfunc_end31:
	.size	_ZL18flash_attn_ext_vecILi256ELi2EL9ggml_type2ELS0_2ELb1EEvPKcS2_S2_S2_S2_PKiPfP15HIP_vector_typeIfLj2EEffffjfiS6_IjLj3EEiiiiiiiiiiiliiliiiiil, .Lfunc_end31-_ZL18flash_attn_ext_vecILi256ELi2EL9ggml_type2ELS0_2ELb1EEvPKcS2_S2_S2_S2_PKiPfP15HIP_vector_typeIfLj2EEffffjfiS6_IjLj3EEiiiiiiiiiiiliiliiiiil
                                        ; -- End function
	.set _ZL18flash_attn_ext_vecILi256ELi2EL9ggml_type2ELS0_2ELb1EEvPKcS2_S2_S2_S2_PKiPfP15HIP_vector_typeIfLj2EEffffjfiS6_IjLj3EEiiiiiiiiiiiliiliiiiil.num_vgpr, 256
	.set _ZL18flash_attn_ext_vecILi256ELi2EL9ggml_type2ELS0_2ELb1EEvPKcS2_S2_S2_S2_PKiPfP15HIP_vector_typeIfLj2EEffffjfiS6_IjLj3EEiiiiiiiiiiiliiliiiiil.num_agpr, 0
	.set _ZL18flash_attn_ext_vecILi256ELi2EL9ggml_type2ELS0_2ELb1EEvPKcS2_S2_S2_S2_PKiPfP15HIP_vector_typeIfLj2EEffffjfiS6_IjLj3EEiiiiiiiiiiiliiliiiiil.numbered_sgpr, 100
	.set _ZL18flash_attn_ext_vecILi256ELi2EL9ggml_type2ELS0_2ELb1EEvPKcS2_S2_S2_S2_PKiPfP15HIP_vector_typeIfLj2EEffffjfiS6_IjLj3EEiiiiiiiiiiiliiliiiiil.num_named_barrier, 0
	.set _ZL18flash_attn_ext_vecILi256ELi2EL9ggml_type2ELS0_2ELb1EEvPKcS2_S2_S2_S2_PKiPfP15HIP_vector_typeIfLj2EEffffjfiS6_IjLj3EEiiiiiiiiiiiliiliiiiil.private_seg_size, 1300
	.set _ZL18flash_attn_ext_vecILi256ELi2EL9ggml_type2ELS0_2ELb1EEvPKcS2_S2_S2_S2_PKiPfP15HIP_vector_typeIfLj2EEffffjfiS6_IjLj3EEiiiiiiiiiiiliiliiiiil.uses_vcc, 1
	.set _ZL18flash_attn_ext_vecILi256ELi2EL9ggml_type2ELS0_2ELb1EEvPKcS2_S2_S2_S2_PKiPfP15HIP_vector_typeIfLj2EEffffjfiS6_IjLj3EEiiiiiiiiiiiliiliiiiil.uses_flat_scratch, 0
	.set _ZL18flash_attn_ext_vecILi256ELi2EL9ggml_type2ELS0_2ELb1EEvPKcS2_S2_S2_S2_PKiPfP15HIP_vector_typeIfLj2EEffffjfiS6_IjLj3EEiiiiiiiiiiiliiliiiiil.has_dyn_sized_stack, 0
	.set _ZL18flash_attn_ext_vecILi256ELi2EL9ggml_type2ELS0_2ELb1EEvPKcS2_S2_S2_S2_PKiPfP15HIP_vector_typeIfLj2EEffffjfiS6_IjLj3EEiiiiiiiiiiiliiliiiiil.has_recursion, 0
	.set _ZL18flash_attn_ext_vecILi256ELi2EL9ggml_type2ELS0_2ELb1EEvPKcS2_S2_S2_S2_PKiPfP15HIP_vector_typeIfLj2EEffffjfiS6_IjLj3EEiiiiiiiiiiiliiliiiiil.has_indirect_call, 0
	.section	.AMDGPU.csdata,"",@progbits
; Kernel info:
; codeLenInByte = 50652
; TotalNumSgprs: 102
; NumVgprs: 256
; ScratchSize: 1300
; MemoryBound: 0
; FloatMode: 240
; IeeeMode: 1
; LDSByteSize: 6656 bytes/workgroup (compile time only)
; SGPRBlocks: 0
; VGPRBlocks: 31
; NumSGPRsForWavesPerEU: 102
; NumVGPRsForWavesPerEU: 256
; Occupancy: 4
; WaveLimiterHint : 0
; COMPUTE_PGM_RSRC2:SCRATCH_EN: 1
; COMPUTE_PGM_RSRC2:USER_SGPR: 8
; COMPUTE_PGM_RSRC2:TRAP_HANDLER: 0
; COMPUTE_PGM_RSRC2:TGID_X_EN: 1
; COMPUTE_PGM_RSRC2:TGID_Y_EN: 1
; COMPUTE_PGM_RSRC2:TGID_Z_EN: 1
; COMPUTE_PGM_RSRC2:TIDIG_COMP_CNT: 2
	.text
	.p2alignl 6, 3214868480
	.fill 48, 4, 3214868480
	.section	.AMDGPU.gpr_maximums,"",@progbits
	.set amdgpu.max_num_vgpr, 40
	.set amdgpu.max_num_agpr, 0
	.set amdgpu.max_num_sgpr, 34
	.text
	.type	.str.3,@object                  ; @.str.3
	.section	.rodata.str1.1,"aMS",@progbits,1
.str.3:
	.asciz	"/root/src/amdgpu-assembly/repos/ggml-org__llama.cpp/ggml/src/ggml-cuda/template-instances/../fattn-vec.cuh"
	.size	.str.3, 107

	.type	__FUNCTION__._ZL18flash_attn_ext_vecILi64ELi1EL9ggml_type2ELS0_2ELb1EEvPKcS2_S2_S2_S2_PKiPfP15HIP_vector_typeIfLj2EEffffjfiS6_IjLj3EEiiiiiiiiiiiliiliiiiil,@object ; @__FUNCTION__._ZL18flash_attn_ext_vecILi64ELi1EL9ggml_type2ELS0_2ELb1EEvPKcS2_S2_S2_S2_PKiPfP15HIP_vector_typeIfLj2EEffffjfiS6_IjLj3EEiiiiiiiiiiiliiliiiiil
__FUNCTION__._ZL18flash_attn_ext_vecILi64ELi1EL9ggml_type2ELS0_2ELb1EEvPKcS2_S2_S2_S2_PKiPfP15HIP_vector_typeIfLj2EEffffjfiS6_IjLj3EEiiiiiiiiiiiliiliiiiil:
	.asciz	"flash_attn_ext_vec"
	.size	__FUNCTION__._ZL18flash_attn_ext_vecILi64ELi1EL9ggml_type2ELS0_2ELb1EEvPKcS2_S2_S2_S2_PKiPfP15HIP_vector_typeIfLj2EEffffjfiS6_IjLj3EEiiiiiiiiiiiliiliiiiil, 19

	.type	.str.5,@object                  ; @.str.5
.str.5:
	.asciz	"%s:%d: ERROR: HIP kernel %s has no device code compatible with HIP arch %d.\n"
	.size	.str.5, 77

	.type	__hip_cuid_128196241aadc1d1,@object ; @__hip_cuid_128196241aadc1d1
	.section	.bss,"aw",@nobits
	.globl	__hip_cuid_128196241aadc1d1
__hip_cuid_128196241aadc1d1:
	.byte	0                               ; 0x0
	.size	__hip_cuid_128196241aadc1d1, 1

	.ident	"AMD clang version 22.0.0git (https://github.com/RadeonOpenCompute/llvm-project roc-7.2.4 26084 f58b06dce1f9c15707c5f808fd002e18c2accf7e)"
	.section	".note.GNU-stack","",@progbits
	.addrsig
	.addrsig_sym __hip_cuid_128196241aadc1d1
	.amdgpu_metadata
---
amdhsa.kernels:
  - .args:
      - .address_space:  global
        .offset:         0
        .size:           8
        .value_kind:     global_buffer
      - .address_space:  global
        .offset:         8
        .size:           8
        .value_kind:     global_buffer
      - .address_space:  global
        .offset:         16
        .size:           8
        .value_kind:     global_buffer
      - .address_space:  global
        .offset:         24
        .size:           8
        .value_kind:     global_buffer
      - .address_space:  global
        .offset:         32
        .size:           8
        .value_kind:     global_buffer
      - .address_space:  global
        .offset:         40
        .size:           8
        .value_kind:     global_buffer
      - .address_space:  global
        .offset:         48
        .size:           8
        .value_kind:     global_buffer
      - .address_space:  global
        .offset:         56
        .size:           8
        .value_kind:     global_buffer
      - .offset:         64
        .size:           4
        .value_kind:     by_value
      - .offset:         68
        .size:           4
        .value_kind:     by_value
      - .offset:         72
        .size:           4
        .value_kind:     by_value
      - .offset:         76
        .size:           4
        .value_kind:     by_value
      - .offset:         80
        .size:           4
        .value_kind:     by_value
      - .offset:         84
        .size:           4
        .value_kind:     by_value
      - .offset:         88
        .size:           4
        .value_kind:     by_value
      - .offset:         92
        .size:           12
        .value_kind:     by_value
      - .offset:         104
        .size:           4
        .value_kind:     by_value
      - .offset:         108
        .size:           4
        .value_kind:     by_value
      - .offset:         112
        .size:           4
        .value_kind:     by_value
      - .offset:         116
        .size:           4
        .value_kind:     by_value
      - .offset:         120
        .size:           4
        .value_kind:     by_value
      - .offset:         124
        .size:           4
        .value_kind:     by_value
      - .offset:         128
        .size:           4
        .value_kind:     by_value
      - .offset:         132
        .size:           4
        .value_kind:     by_value
      - .offset:         136
        .size:           4
        .value_kind:     by_value
      - .offset:         140
        .size:           4
        .value_kind:     by_value
      - .offset:         144
        .size:           4
        .value_kind:     by_value
      - .offset:         152
        .size:           8
        .value_kind:     by_value
      - .offset:         160
        .size:           4
        .value_kind:     by_value
      - .offset:         164
        .size:           4
        .value_kind:     by_value
      - .offset:         168
        .size:           8
        .value_kind:     by_value
      - .offset:         176
        .size:           4
        .value_kind:     by_value
      - .offset:         180
        .size:           4
        .value_kind:     by_value
      - .offset:         184
        .size:           4
        .value_kind:     by_value
      - .offset:         188
        .size:           4
        .value_kind:     by_value
      - .offset:         192
        .size:           4
        .value_kind:     by_value
      - .offset:         200
        .size:           8
        .value_kind:     by_value
      - .offset:         208
        .size:           4
        .value_kind:     hidden_block_count_x
      - .offset:         212
        .size:           4
        .value_kind:     hidden_block_count_y
      - .offset:         216
        .size:           4
        .value_kind:     hidden_block_count_z
      - .offset:         220
        .size:           2
        .value_kind:     hidden_group_size_x
      - .offset:         222
        .size:           2
        .value_kind:     hidden_group_size_y
      - .offset:         224
        .size:           2
        .value_kind:     hidden_group_size_z
      - .offset:         226
        .size:           2
        .value_kind:     hidden_remainder_x
      - .offset:         228
        .size:           2
        .value_kind:     hidden_remainder_y
      - .offset:         230
        .size:           2
        .value_kind:     hidden_remainder_z
      - .offset:         248
        .size:           8
        .value_kind:     hidden_global_offset_x
      - .offset:         256
        .size:           8
        .value_kind:     hidden_global_offset_y
      - .offset:         264
        .size:           8
        .value_kind:     hidden_global_offset_z
      - .offset:         272
        .size:           2
        .value_kind:     hidden_grid_dims
    .group_segment_fixed_size: 1280
    .kernarg_segment_align: 8
    .kernarg_segment_size: 464
    .language:       OpenCL C
    .language_version:
      - 2
      - 0
    .max_flat_workgroup_size: 128
    .name:           _ZL18flash_attn_ext_vecILi64ELi1EL9ggml_type2ELS0_2ELb0EEvPKcS2_S2_S2_S2_PKiPfP15HIP_vector_typeIfLj2EEffffjfiS6_IjLj3EEiiiiiiiiiiiliiliiiiil
    .private_segment_fixed_size: 0
    .sgpr_count:     52
    .sgpr_spill_count: 0
    .symbol:         _ZL18flash_attn_ext_vecILi64ELi1EL9ggml_type2ELS0_2ELb0EEvPKcS2_S2_S2_S2_PKiPfP15HIP_vector_typeIfLj2EEffffjfiS6_IjLj3EEiiiiiiiiiiiliiliiiiil.kd
    .uniform_work_group_size: 1
    .uses_dynamic_stack: false
    .vgpr_count:     126
    .vgpr_spill_count: 0
    .wavefront_size: 32
    .workgroup_processor_mode: 1
  - .args:
      - .actual_access:  read_only
        .address_space:  global
        .offset:         0
        .size:           8
        .value_kind:     global_buffer
      - .actual_access:  write_only
        .address_space:  global
        .offset:         8
        .size:           8
        .value_kind:     global_buffer
      - .offset:         16
        .size:           4
        .value_kind:     by_value
      - .offset:         20
        .size:           4
        .value_kind:     by_value
      - .offset:         24
        .size:           4
        .value_kind:     by_value
      - .offset:         32
        .size:           4
        .value_kind:     hidden_block_count_x
      - .offset:         36
        .size:           4
        .value_kind:     hidden_block_count_y
      - .offset:         40
        .size:           4
        .value_kind:     hidden_block_count_z
      - .offset:         44
        .size:           2
        .value_kind:     hidden_group_size_x
      - .offset:         46
        .size:           2
        .value_kind:     hidden_group_size_y
      - .offset:         48
        .size:           2
        .value_kind:     hidden_group_size_z
      - .offset:         50
        .size:           2
        .value_kind:     hidden_remainder_x
      - .offset:         52
        .size:           2
        .value_kind:     hidden_remainder_y
      - .offset:         54
        .size:           2
        .value_kind:     hidden_remainder_z
      - .offset:         72
        .size:           8
        .value_kind:     hidden_global_offset_x
      - .offset:         80
        .size:           8
        .value_kind:     hidden_global_offset_y
      - .offset:         88
        .size:           8
        .value_kind:     hidden_global_offset_z
      - .offset:         96
        .size:           2
        .value_kind:     hidden_grid_dims
    .group_segment_fixed_size: 128
    .kernarg_segment_align: 8
    .kernarg_segment_size: 288
    .language:       OpenCL C
    .language_version:
      - 2
      - 0
    .max_flat_workgroup_size: 128
    .name:           _ZL25flash_attn_mask_to_KV_maxILi1EEvPK7__half2Piiii
    .private_segment_fixed_size: 0
    .sgpr_count:     18
    .sgpr_spill_count: 0
    .symbol:         _ZL25flash_attn_mask_to_KV_maxILi1EEvPK7__half2Piiii.kd
    .uniform_work_group_size: 1
    .uses_dynamic_stack: false
    .vgpr_count:     8
    .vgpr_spill_count: 0
    .wavefront_size: 32
    .workgroup_processor_mode: 1
  - .args:
      - .address_space:  global
        .offset:         0
        .size:           8
        .value_kind:     global_buffer
      - .address_space:  global
        .offset:         8
        .size:           8
        .value_kind:     global_buffer
      - .offset:         16
        .size:           4
        .value_kind:     by_value
      - .offset:         20
        .size:           4
        .value_kind:     by_value
      - .offset:         24
        .size:           4
        .value_kind:     by_value
      - .offset:         28
        .size:           4
        .value_kind:     by_value
      - .offset:         32
        .size:           4
        .value_kind:     by_value
      - .offset:         36
        .size:           4
        .value_kind:     by_value
      - .offset:         40
        .size:           12
        .value_kind:     by_value
      - .offset:         52
        .size:           12
        .value_kind:     by_value
      - .offset:         64
        .size:           12
        .value_kind:     by_value
    .group_segment_fixed_size: 0
    .kernarg_segment_align: 8
    .kernarg_segment_size: 76
    .language:       OpenCL C
    .language_version:
      - 2
      - 0
    .max_flat_workgroup_size: 64
    .name:           _ZL33flash_attn_stream_k_fixup_uniformILi64ELi1ELi1EEvPfPK15HIP_vector_typeIfLj2EEiiiiiiS1_IjLj3EES5_S5_
    .private_segment_fixed_size: 0
    .sgpr_count:     22
    .sgpr_spill_count: 0
    .symbol:         _ZL33flash_attn_stream_k_fixup_uniformILi64ELi1ELi1EEvPfPK15HIP_vector_typeIfLj2EEiiiiiiS1_IjLj3EES5_S5_.kd
    .uniform_work_group_size: 1
    .uses_dynamic_stack: false
    .vgpr_count:     15
    .vgpr_spill_count: 0
    .wavefront_size: 32
    .workgroup_processor_mode: 1
  - .args:
      - .address_space:  global
        .offset:         0
        .size:           8
        .value_kind:     global_buffer
      - .address_space:  global
        .offset:         8
        .size:           8
        .value_kind:     global_buffer
      - .offset:         16
        .size:           4
        .value_kind:     by_value
      - .offset:         20
        .size:           4
        .value_kind:     by_value
      - .offset:         24
        .size:           4
        .value_kind:     by_value
      - .offset:         28
        .size:           4
        .value_kind:     by_value
      - .offset:         32
        .size:           12
        .value_kind:     by_value
      - .offset:         44
        .size:           12
        .value_kind:     by_value
      - .offset:         56
        .size:           12
        .value_kind:     by_value
      - .offset:         68
        .size:           12
        .value_kind:     by_value
      - .offset:         80
        .size:           4
        .value_kind:     hidden_block_count_x
      - .offset:         84
        .size:           4
        .value_kind:     hidden_block_count_y
      - .offset:         88
        .size:           4
        .value_kind:     hidden_block_count_z
      - .offset:         92
        .size:           2
        .value_kind:     hidden_group_size_x
      - .offset:         94
        .size:           2
        .value_kind:     hidden_group_size_y
      - .offset:         96
        .size:           2
        .value_kind:     hidden_group_size_z
      - .offset:         98
        .size:           2
        .value_kind:     hidden_remainder_x
      - .offset:         100
        .size:           2
        .value_kind:     hidden_remainder_y
      - .offset:         102
        .size:           2
        .value_kind:     hidden_remainder_z
      - .offset:         120
        .size:           8
        .value_kind:     hidden_global_offset_x
      - .offset:         128
        .size:           8
        .value_kind:     hidden_global_offset_y
      - .offset:         136
        .size:           8
        .value_kind:     hidden_global_offset_z
      - .offset:         144
        .size:           2
        .value_kind:     hidden_grid_dims
    .group_segment_fixed_size: 0
    .kernarg_segment_align: 8
    .kernarg_segment_size: 336
    .language:       OpenCL C
    .language_version:
      - 2
      - 0
    .max_flat_workgroup_size: 64
    .name:           _ZL33flash_attn_stream_k_fixup_generalILi64ELi1ELi1EEvPfPK15HIP_vector_typeIfLj2EEiiiiS1_IjLj3EES5_S5_S5_
    .private_segment_fixed_size: 0
    .sgpr_count:     33
    .sgpr_spill_count: 0
    .symbol:         _ZL33flash_attn_stream_k_fixup_generalILi64ELi1ELi1EEvPfPK15HIP_vector_typeIfLj2EEiiiiS1_IjLj3EES5_S5_S5_.kd
    .uniform_work_group_size: 1
    .uses_dynamic_stack: false
    .vgpr_count:     17
    .vgpr_spill_count: 0
    .wavefront_size: 32
    .workgroup_processor_mode: 1
  - .args:
      - .address_space:  global
        .offset:         0
        .size:           8
        .value_kind:     global_buffer
      - .address_space:  global
        .offset:         8
        .size:           8
        .value_kind:     global_buffer
      - .address_space:  global
        .offset:         16
        .size:           8
        .value_kind:     global_buffer
      - .offset:         24
        .size:           4
        .value_kind:     by_value
      - .offset:         32
        .size:           4
        .value_kind:     hidden_block_count_x
      - .offset:         36
        .size:           4
        .value_kind:     hidden_block_count_y
      - .offset:         40
        .size:           4
        .value_kind:     hidden_block_count_z
      - .offset:         44
        .size:           2
        .value_kind:     hidden_group_size_x
      - .offset:         46
        .size:           2
        .value_kind:     hidden_group_size_y
      - .offset:         48
        .size:           2
        .value_kind:     hidden_group_size_z
      - .offset:         50
        .size:           2
        .value_kind:     hidden_remainder_x
      - .offset:         52
        .size:           2
        .value_kind:     hidden_remainder_y
      - .offset:         54
        .size:           2
        .value_kind:     hidden_remainder_z
      - .offset:         72
        .size:           8
        .value_kind:     hidden_global_offset_x
      - .offset:         80
        .size:           8
        .value_kind:     hidden_global_offset_y
      - .offset:         88
        .size:           8
        .value_kind:     hidden_global_offset_z
      - .offset:         96
        .size:           2
        .value_kind:     hidden_grid_dims
      - .offset:         152
        .size:           4
        .value_kind:     hidden_dynamic_lds_size
    .group_segment_fixed_size: 0
    .kernarg_segment_align: 8
    .kernarg_segment_size: 288
    .language:       OpenCL C
    .language_version:
      - 2
      - 0
    .max_flat_workgroup_size: 64
    .name:           _ZL26flash_attn_combine_resultsILi64EEvPKfPK15HIP_vector_typeIfLj2EEPfi
    .private_segment_fixed_size: 0
    .sgpr_count:     20
    .sgpr_spill_count: 0
    .symbol:         _ZL26flash_attn_combine_resultsILi64EEvPKfPK15HIP_vector_typeIfLj2EEPfi.kd
    .uniform_work_group_size: 1
    .uses_dynamic_stack: false
    .vgpr_count:     52
    .vgpr_spill_count: 0
    .wavefront_size: 32
    .workgroup_processor_mode: 1
  - .args:
      - .address_space:  global
        .offset:         0
        .size:           8
        .value_kind:     global_buffer
      - .address_space:  global
        .offset:         8
        .size:           8
        .value_kind:     global_buffer
      - .address_space:  global
        .offset:         16
        .size:           8
        .value_kind:     global_buffer
      - .address_space:  global
        .offset:         24
        .size:           8
        .value_kind:     global_buffer
      - .address_space:  global
        .offset:         32
        .size:           8
        .value_kind:     global_buffer
      - .address_space:  global
        .offset:         40
        .size:           8
        .value_kind:     global_buffer
      - .address_space:  global
        .offset:         48
        .size:           8
        .value_kind:     global_buffer
      - .address_space:  global
        .offset:         56
        .size:           8
        .value_kind:     global_buffer
      - .offset:         64
        .size:           4
        .value_kind:     by_value
      - .offset:         68
        .size:           4
        .value_kind:     by_value
      - .offset:         72
        .size:           4
        .value_kind:     by_value
      - .offset:         76
        .size:           4
        .value_kind:     by_value
      - .offset:         80
        .size:           4
        .value_kind:     by_value
      - .offset:         84
        .size:           4
        .value_kind:     by_value
      - .offset:         88
        .size:           4
        .value_kind:     by_value
      - .offset:         92
        .size:           12
        .value_kind:     by_value
      - .offset:         104
        .size:           4
        .value_kind:     by_value
      - .offset:         108
        .size:           4
        .value_kind:     by_value
      - .offset:         112
        .size:           4
        .value_kind:     by_value
      - .offset:         116
        .size:           4
        .value_kind:     by_value
      - .offset:         120
        .size:           4
        .value_kind:     by_value
      - .offset:         124
        .size:           4
        .value_kind:     by_value
      - .offset:         128
        .size:           4
        .value_kind:     by_value
      - .offset:         132
        .size:           4
        .value_kind:     by_value
      - .offset:         136
        .size:           4
        .value_kind:     by_value
      - .offset:         140
        .size:           4
        .value_kind:     by_value
      - .offset:         144
        .size:           4
        .value_kind:     by_value
      - .offset:         152
        .size:           8
        .value_kind:     by_value
      - .offset:         160
        .size:           4
        .value_kind:     by_value
      - .offset:         164
        .size:           4
        .value_kind:     by_value
      - .offset:         168
        .size:           8
        .value_kind:     by_value
      - .offset:         176
        .size:           4
        .value_kind:     by_value
      - .offset:         180
        .size:           4
        .value_kind:     by_value
      - .offset:         184
        .size:           4
        .value_kind:     by_value
      - .offset:         188
        .size:           4
        .value_kind:     by_value
      - .offset:         192
        .size:           4
        .value_kind:     by_value
      - .offset:         200
        .size:           8
        .value_kind:     by_value
      - .offset:         208
        .size:           4
        .value_kind:     hidden_block_count_x
      - .offset:         212
        .size:           4
        .value_kind:     hidden_block_count_y
      - .offset:         216
        .size:           4
        .value_kind:     hidden_block_count_z
      - .offset:         220
        .size:           2
        .value_kind:     hidden_group_size_x
      - .offset:         222
        .size:           2
        .value_kind:     hidden_group_size_y
      - .offset:         224
        .size:           2
        .value_kind:     hidden_group_size_z
      - .offset:         226
        .size:           2
        .value_kind:     hidden_remainder_x
      - .offset:         228
        .size:           2
        .value_kind:     hidden_remainder_y
      - .offset:         230
        .size:           2
        .value_kind:     hidden_remainder_z
      - .offset:         248
        .size:           8
        .value_kind:     hidden_global_offset_x
      - .offset:         256
        .size:           8
        .value_kind:     hidden_global_offset_y
      - .offset:         264
        .size:           8
        .value_kind:     hidden_global_offset_z
      - .offset:         272
        .size:           2
        .value_kind:     hidden_grid_dims
      - .offset:         288
        .size:           8
        .value_kind:     hidden_hostcall_buffer
    .group_segment_fixed_size: 0
    .kernarg_segment_align: 8
    .kernarg_segment_size: 464
    .language:       OpenCL C
    .language_version:
      - 2
      - 0
    .max_flat_workgroup_size: 128
    .name:           _ZL18flash_attn_ext_vecILi64ELi1EL9ggml_type2ELS0_2ELb1EEvPKcS2_S2_S2_S2_PKiPfP15HIP_vector_typeIfLj2EEffffjfiS6_IjLj3EEiiiiiiiiiiiliiliiiiil
    .private_segment_fixed_size: 16
    .sgpr_count:     36
    .sgpr_spill_count: 0
    .symbol:         _ZL18flash_attn_ext_vecILi64ELi1EL9ggml_type2ELS0_2ELb1EEvPKcS2_S2_S2_S2_PKiPfP15HIP_vector_typeIfLj2EEffffjfiS6_IjLj3EEiiiiiiiiiiiliiliiiiil.kd
    .uniform_work_group_size: 1
    .uses_dynamic_stack: false
    .vgpr_count:     40
    .vgpr_spill_count: 0
    .wavefront_size: 32
    .workgroup_processor_mode: 1
  - .args:
      - .address_space:  global
        .offset:         0
        .size:           8
        .value_kind:     global_buffer
      - .address_space:  global
        .offset:         8
        .size:           8
        .value_kind:     global_buffer
      - .address_space:  global
        .offset:         16
        .size:           8
        .value_kind:     global_buffer
      - .address_space:  global
        .offset:         24
        .size:           8
        .value_kind:     global_buffer
      - .address_space:  global
        .offset:         32
        .size:           8
        .value_kind:     global_buffer
      - .address_space:  global
        .offset:         40
        .size:           8
        .value_kind:     global_buffer
      - .address_space:  global
        .offset:         48
        .size:           8
        .value_kind:     global_buffer
      - .address_space:  global
        .offset:         56
        .size:           8
        .value_kind:     global_buffer
      - .offset:         64
        .size:           4
        .value_kind:     by_value
      - .offset:         68
        .size:           4
        .value_kind:     by_value
      - .offset:         72
        .size:           4
        .value_kind:     by_value
      - .offset:         76
        .size:           4
        .value_kind:     by_value
      - .offset:         80
        .size:           4
        .value_kind:     by_value
      - .offset:         84
        .size:           4
        .value_kind:     by_value
      - .offset:         88
        .size:           4
        .value_kind:     by_value
      - .offset:         92
        .size:           12
        .value_kind:     by_value
      - .offset:         104
        .size:           4
        .value_kind:     by_value
      - .offset:         108
        .size:           4
        .value_kind:     by_value
      - .offset:         112
        .size:           4
        .value_kind:     by_value
      - .offset:         116
        .size:           4
        .value_kind:     by_value
      - .offset:         120
        .size:           4
        .value_kind:     by_value
      - .offset:         124
        .size:           4
        .value_kind:     by_value
      - .offset:         128
        .size:           4
        .value_kind:     by_value
      - .offset:         132
        .size:           4
        .value_kind:     by_value
      - .offset:         136
        .size:           4
        .value_kind:     by_value
      - .offset:         140
        .size:           4
        .value_kind:     by_value
      - .offset:         144
        .size:           4
        .value_kind:     by_value
      - .offset:         152
        .size:           8
        .value_kind:     by_value
      - .offset:         160
        .size:           4
        .value_kind:     by_value
      - .offset:         164
        .size:           4
        .value_kind:     by_value
      - .offset:         168
        .size:           8
        .value_kind:     by_value
      - .offset:         176
        .size:           4
        .value_kind:     by_value
      - .offset:         180
        .size:           4
        .value_kind:     by_value
      - .offset:         184
        .size:           4
        .value_kind:     by_value
      - .offset:         188
        .size:           4
        .value_kind:     by_value
      - .offset:         192
        .size:           4
        .value_kind:     by_value
      - .offset:         200
        .size:           8
        .value_kind:     by_value
      - .offset:         208
        .size:           4
        .value_kind:     hidden_block_count_x
      - .offset:         212
        .size:           4
        .value_kind:     hidden_block_count_y
      - .offset:         216
        .size:           4
        .value_kind:     hidden_block_count_z
      - .offset:         220
        .size:           2
        .value_kind:     hidden_group_size_x
      - .offset:         222
        .size:           2
        .value_kind:     hidden_group_size_y
      - .offset:         224
        .size:           2
        .value_kind:     hidden_group_size_z
      - .offset:         226
        .size:           2
        .value_kind:     hidden_remainder_x
      - .offset:         228
        .size:           2
        .value_kind:     hidden_remainder_y
      - .offset:         230
        .size:           2
        .value_kind:     hidden_remainder_z
      - .offset:         248
        .size:           8
        .value_kind:     hidden_global_offset_x
      - .offset:         256
        .size:           8
        .value_kind:     hidden_global_offset_y
      - .offset:         264
        .size:           8
        .value_kind:     hidden_global_offset_z
      - .offset:         272
        .size:           2
        .value_kind:     hidden_grid_dims
    .group_segment_fixed_size: 3584
    .kernarg_segment_align: 8
    .kernarg_segment_size: 464
    .language:       OpenCL C
    .language_version:
      - 2
      - 0
    .max_flat_workgroup_size: 128
    .name:           _ZL18flash_attn_ext_vecILi64ELi2EL9ggml_type2ELS0_2ELb0EEvPKcS2_S2_S2_S2_PKiPfP15HIP_vector_typeIfLj2EEffffjfiS6_IjLj3EEiiiiiiiiiiiliiliiiiil
    .private_segment_fixed_size: 0
    .sgpr_count:     56
    .sgpr_spill_count: 0
    .symbol:         _ZL18flash_attn_ext_vecILi64ELi2EL9ggml_type2ELS0_2ELb0EEvPKcS2_S2_S2_S2_PKiPfP15HIP_vector_typeIfLj2EEffffjfiS6_IjLj3EEiiiiiiiiiiiliiliiiiil.kd
    .uniform_work_group_size: 1
    .uses_dynamic_stack: false
    .vgpr_count:     149
    .vgpr_spill_count: 0
    .wavefront_size: 32
    .workgroup_processor_mode: 1
  - .args:
      - .actual_access:  read_only
        .address_space:  global
        .offset:         0
        .size:           8
        .value_kind:     global_buffer
      - .actual_access:  write_only
        .address_space:  global
        .offset:         8
        .size:           8
        .value_kind:     global_buffer
      - .offset:         16
        .size:           4
        .value_kind:     by_value
      - .offset:         20
        .size:           4
        .value_kind:     by_value
      - .offset:         24
        .size:           4
        .value_kind:     by_value
      - .offset:         32
        .size:           4
        .value_kind:     hidden_block_count_x
      - .offset:         36
        .size:           4
        .value_kind:     hidden_block_count_y
      - .offset:         40
        .size:           4
        .value_kind:     hidden_block_count_z
      - .offset:         44
        .size:           2
        .value_kind:     hidden_group_size_x
      - .offset:         46
        .size:           2
        .value_kind:     hidden_group_size_y
      - .offset:         48
        .size:           2
        .value_kind:     hidden_group_size_z
      - .offset:         50
        .size:           2
        .value_kind:     hidden_remainder_x
      - .offset:         52
        .size:           2
        .value_kind:     hidden_remainder_y
      - .offset:         54
        .size:           2
        .value_kind:     hidden_remainder_z
      - .offset:         72
        .size:           8
        .value_kind:     hidden_global_offset_x
      - .offset:         80
        .size:           8
        .value_kind:     hidden_global_offset_y
      - .offset:         88
        .size:           8
        .value_kind:     hidden_global_offset_z
      - .offset:         96
        .size:           2
        .value_kind:     hidden_grid_dims
    .group_segment_fixed_size: 128
    .kernarg_segment_align: 8
    .kernarg_segment_size: 288
    .language:       OpenCL C
    .language_version:
      - 2
      - 0
    .max_flat_workgroup_size: 128
    .name:           _ZL25flash_attn_mask_to_KV_maxILi2EEvPK7__half2Piiii
    .private_segment_fixed_size: 0
    .sgpr_count:     18
    .sgpr_spill_count: 0
    .symbol:         _ZL25flash_attn_mask_to_KV_maxILi2EEvPK7__half2Piiii.kd
    .uniform_work_group_size: 1
    .uses_dynamic_stack: false
    .vgpr_count:     8
    .vgpr_spill_count: 0
    .wavefront_size: 32
    .workgroup_processor_mode: 1
  - .args:
      - .address_space:  global
        .offset:         0
        .size:           8
        .value_kind:     global_buffer
      - .address_space:  global
        .offset:         8
        .size:           8
        .value_kind:     global_buffer
      - .offset:         16
        .size:           4
        .value_kind:     by_value
      - .offset:         20
        .size:           4
        .value_kind:     by_value
      - .offset:         24
        .size:           4
        .value_kind:     by_value
      - .offset:         28
        .size:           4
        .value_kind:     by_value
      - .offset:         32
        .size:           4
        .value_kind:     by_value
      - .offset:         36
        .size:           4
        .value_kind:     by_value
      - .offset:         40
        .size:           12
        .value_kind:     by_value
      - .offset:         52
        .size:           12
        .value_kind:     by_value
      - .offset:         64
        .size:           12
        .value_kind:     by_value
    .group_segment_fixed_size: 0
    .kernarg_segment_align: 8
    .kernarg_segment_size: 76
    .language:       OpenCL C
    .language_version:
      - 2
      - 0
    .max_flat_workgroup_size: 64
    .name:           _ZL33flash_attn_stream_k_fixup_uniformILi64ELi2ELi1EEvPfPK15HIP_vector_typeIfLj2EEiiiiiiS1_IjLj3EES5_S5_
    .private_segment_fixed_size: 0
    .sgpr_count:     26
    .sgpr_spill_count: 0
    .symbol:         _ZL33flash_attn_stream_k_fixup_uniformILi64ELi2ELi1EEvPfPK15HIP_vector_typeIfLj2EEiiiiiiS1_IjLj3EES5_S5_.kd
    .uniform_work_group_size: 1
    .uses_dynamic_stack: false
    .vgpr_count:     15
    .vgpr_spill_count: 0
    .wavefront_size: 32
    .workgroup_processor_mode: 1
  - .args:
      - .address_space:  global
        .offset:         0
        .size:           8
        .value_kind:     global_buffer
      - .address_space:  global
        .offset:         8
        .size:           8
        .value_kind:     global_buffer
      - .offset:         16
        .size:           4
        .value_kind:     by_value
      - .offset:         20
        .size:           4
        .value_kind:     by_value
      - .offset:         24
        .size:           4
        .value_kind:     by_value
      - .offset:         28
        .size:           4
        .value_kind:     by_value
      - .offset:         32
        .size:           12
        .value_kind:     by_value
      - .offset:         44
        .size:           12
        .value_kind:     by_value
      - .offset:         56
        .size:           12
        .value_kind:     by_value
      - .offset:         68
        .size:           12
        .value_kind:     by_value
      - .offset:         80
        .size:           4
        .value_kind:     hidden_block_count_x
      - .offset:         84
        .size:           4
        .value_kind:     hidden_block_count_y
      - .offset:         88
        .size:           4
        .value_kind:     hidden_block_count_z
      - .offset:         92
        .size:           2
        .value_kind:     hidden_group_size_x
      - .offset:         94
        .size:           2
        .value_kind:     hidden_group_size_y
      - .offset:         96
        .size:           2
        .value_kind:     hidden_group_size_z
      - .offset:         98
        .size:           2
        .value_kind:     hidden_remainder_x
      - .offset:         100
        .size:           2
        .value_kind:     hidden_remainder_y
      - .offset:         102
        .size:           2
        .value_kind:     hidden_remainder_z
      - .offset:         120
        .size:           8
        .value_kind:     hidden_global_offset_x
      - .offset:         128
        .size:           8
        .value_kind:     hidden_global_offset_y
      - .offset:         136
        .size:           8
        .value_kind:     hidden_global_offset_z
      - .offset:         144
        .size:           2
        .value_kind:     hidden_grid_dims
    .group_segment_fixed_size: 0
    .kernarg_segment_align: 8
    .kernarg_segment_size: 336
    .language:       OpenCL C
    .language_version:
      - 2
      - 0
    .max_flat_workgroup_size: 64
    .name:           _ZL33flash_attn_stream_k_fixup_generalILi64ELi2ELi1EEvPfPK15HIP_vector_typeIfLj2EEiiiiS1_IjLj3EES5_S5_S5_
    .private_segment_fixed_size: 0
    .sgpr_count:     33
    .sgpr_spill_count: 0
    .symbol:         _ZL33flash_attn_stream_k_fixup_generalILi64ELi2ELi1EEvPfPK15HIP_vector_typeIfLj2EEiiiiS1_IjLj3EES5_S5_S5_.kd
    .uniform_work_group_size: 1
    .uses_dynamic_stack: false
    .vgpr_count:     17
    .vgpr_spill_count: 0
    .wavefront_size: 32
    .workgroup_processor_mode: 1
  - .args:
      - .address_space:  global
        .offset:         0
        .size:           8
        .value_kind:     global_buffer
      - .address_space:  global
        .offset:         8
        .size:           8
        .value_kind:     global_buffer
      - .address_space:  global
        .offset:         16
        .size:           8
        .value_kind:     global_buffer
      - .address_space:  global
        .offset:         24
        .size:           8
        .value_kind:     global_buffer
      - .address_space:  global
        .offset:         32
        .size:           8
        .value_kind:     global_buffer
      - .address_space:  global
        .offset:         40
        .size:           8
        .value_kind:     global_buffer
      - .address_space:  global
        .offset:         48
        .size:           8
        .value_kind:     global_buffer
      - .address_space:  global
        .offset:         56
        .size:           8
        .value_kind:     global_buffer
      - .offset:         64
        .size:           4
        .value_kind:     by_value
      - .offset:         68
        .size:           4
        .value_kind:     by_value
      - .offset:         72
        .size:           4
        .value_kind:     by_value
      - .offset:         76
        .size:           4
        .value_kind:     by_value
      - .offset:         80
        .size:           4
        .value_kind:     by_value
      - .offset:         84
        .size:           4
        .value_kind:     by_value
      - .offset:         88
        .size:           4
        .value_kind:     by_value
      - .offset:         92
        .size:           12
        .value_kind:     by_value
      - .offset:         104
        .size:           4
        .value_kind:     by_value
      - .offset:         108
        .size:           4
        .value_kind:     by_value
      - .offset:         112
        .size:           4
        .value_kind:     by_value
      - .offset:         116
        .size:           4
        .value_kind:     by_value
      - .offset:         120
        .size:           4
        .value_kind:     by_value
      - .offset:         124
        .size:           4
        .value_kind:     by_value
      - .offset:         128
        .size:           4
        .value_kind:     by_value
      - .offset:         132
        .size:           4
        .value_kind:     by_value
      - .offset:         136
        .size:           4
        .value_kind:     by_value
      - .offset:         140
        .size:           4
        .value_kind:     by_value
      - .offset:         144
        .size:           4
        .value_kind:     by_value
      - .offset:         152
        .size:           8
        .value_kind:     by_value
      - .offset:         160
        .size:           4
        .value_kind:     by_value
      - .offset:         164
        .size:           4
        .value_kind:     by_value
      - .offset:         168
        .size:           8
        .value_kind:     by_value
      - .offset:         176
        .size:           4
        .value_kind:     by_value
      - .offset:         180
        .size:           4
        .value_kind:     by_value
      - .offset:         184
        .size:           4
        .value_kind:     by_value
      - .offset:         188
        .size:           4
        .value_kind:     by_value
      - .offset:         192
        .size:           4
        .value_kind:     by_value
      - .offset:         200
        .size:           8
        .value_kind:     by_value
      - .offset:         208
        .size:           4
        .value_kind:     hidden_block_count_x
      - .offset:         212
        .size:           4
        .value_kind:     hidden_block_count_y
      - .offset:         216
        .size:           4
        .value_kind:     hidden_block_count_z
      - .offset:         220
        .size:           2
        .value_kind:     hidden_group_size_x
      - .offset:         222
        .size:           2
        .value_kind:     hidden_group_size_y
      - .offset:         224
        .size:           2
        .value_kind:     hidden_group_size_z
      - .offset:         226
        .size:           2
        .value_kind:     hidden_remainder_x
      - .offset:         228
        .size:           2
        .value_kind:     hidden_remainder_y
      - .offset:         230
        .size:           2
        .value_kind:     hidden_remainder_z
      - .offset:         248
        .size:           8
        .value_kind:     hidden_global_offset_x
      - .offset:         256
        .size:           8
        .value_kind:     hidden_global_offset_y
      - .offset:         264
        .size:           8
        .value_kind:     hidden_global_offset_z
      - .offset:         272
        .size:           2
        .value_kind:     hidden_grid_dims
      - .offset:         288
        .size:           8
        .value_kind:     hidden_hostcall_buffer
    .group_segment_fixed_size: 0
    .kernarg_segment_align: 8
    .kernarg_segment_size: 464
    .language:       OpenCL C
    .language_version:
      - 2
      - 0
    .max_flat_workgroup_size: 128
    .name:           _ZL18flash_attn_ext_vecILi64ELi2EL9ggml_type2ELS0_2ELb1EEvPKcS2_S2_S2_S2_PKiPfP15HIP_vector_typeIfLj2EEffffjfiS6_IjLj3EEiiiiiiiiiiiliiliiiiil
    .private_segment_fixed_size: 16
    .sgpr_count:     36
    .sgpr_spill_count: 0
    .symbol:         _ZL18flash_attn_ext_vecILi64ELi2EL9ggml_type2ELS0_2ELb1EEvPKcS2_S2_S2_S2_PKiPfP15HIP_vector_typeIfLj2EEffffjfiS6_IjLj3EEiiiiiiiiiiiliiliiiiil.kd
    .uniform_work_group_size: 1
    .uses_dynamic_stack: false
    .vgpr_count:     40
    .vgpr_spill_count: 0
    .wavefront_size: 32
    .workgroup_processor_mode: 1
  - .args:
      - .address_space:  global
        .offset:         0
        .size:           8
        .value_kind:     global_buffer
      - .address_space:  global
        .offset:         8
        .size:           8
        .value_kind:     global_buffer
      - .address_space:  global
        .offset:         16
        .size:           8
        .value_kind:     global_buffer
      - .address_space:  global
        .offset:         24
        .size:           8
        .value_kind:     global_buffer
      - .address_space:  global
        .offset:         32
        .size:           8
        .value_kind:     global_buffer
      - .address_space:  global
        .offset:         40
        .size:           8
        .value_kind:     global_buffer
      - .address_space:  global
        .offset:         48
        .size:           8
        .value_kind:     global_buffer
      - .address_space:  global
        .offset:         56
        .size:           8
        .value_kind:     global_buffer
      - .offset:         64
        .size:           4
        .value_kind:     by_value
      - .offset:         68
        .size:           4
        .value_kind:     by_value
      - .offset:         72
        .size:           4
        .value_kind:     by_value
      - .offset:         76
        .size:           4
        .value_kind:     by_value
      - .offset:         80
        .size:           4
        .value_kind:     by_value
      - .offset:         84
        .size:           4
        .value_kind:     by_value
      - .offset:         88
        .size:           4
        .value_kind:     by_value
      - .offset:         92
        .size:           12
        .value_kind:     by_value
      - .offset:         104
        .size:           4
        .value_kind:     by_value
      - .offset:         108
        .size:           4
        .value_kind:     by_value
      - .offset:         112
        .size:           4
        .value_kind:     by_value
      - .offset:         116
        .size:           4
        .value_kind:     by_value
      - .offset:         120
        .size:           4
        .value_kind:     by_value
      - .offset:         124
        .size:           4
        .value_kind:     by_value
      - .offset:         128
        .size:           4
        .value_kind:     by_value
      - .offset:         132
        .size:           4
        .value_kind:     by_value
      - .offset:         136
        .size:           4
        .value_kind:     by_value
      - .offset:         140
        .size:           4
        .value_kind:     by_value
      - .offset:         144
        .size:           4
        .value_kind:     by_value
      - .offset:         152
        .size:           8
        .value_kind:     by_value
      - .offset:         160
        .size:           4
        .value_kind:     by_value
      - .offset:         164
        .size:           4
        .value_kind:     by_value
      - .offset:         168
        .size:           8
        .value_kind:     by_value
      - .offset:         176
        .size:           4
        .value_kind:     by_value
      - .offset:         180
        .size:           4
        .value_kind:     by_value
      - .offset:         184
        .size:           4
        .value_kind:     by_value
      - .offset:         188
        .size:           4
        .value_kind:     by_value
      - .offset:         192
        .size:           4
        .value_kind:     by_value
      - .offset:         200
        .size:           8
        .value_kind:     by_value
      - .offset:         208
        .size:           4
        .value_kind:     hidden_block_count_x
      - .offset:         212
        .size:           4
        .value_kind:     hidden_block_count_y
      - .offset:         216
        .size:           4
        .value_kind:     hidden_block_count_z
      - .offset:         220
        .size:           2
        .value_kind:     hidden_group_size_x
      - .offset:         222
        .size:           2
        .value_kind:     hidden_group_size_y
      - .offset:         224
        .size:           2
        .value_kind:     hidden_group_size_z
      - .offset:         226
        .size:           2
        .value_kind:     hidden_remainder_x
      - .offset:         228
        .size:           2
        .value_kind:     hidden_remainder_y
      - .offset:         230
        .size:           2
        .value_kind:     hidden_remainder_z
      - .offset:         248
        .size:           8
        .value_kind:     hidden_global_offset_x
      - .offset:         256
        .size:           8
        .value_kind:     hidden_global_offset_y
      - .offset:         264
        .size:           8
        .value_kind:     hidden_global_offset_z
      - .offset:         272
        .size:           2
        .value_kind:     hidden_grid_dims
    .group_segment_fixed_size: 1280
    .kernarg_segment_align: 8
    .kernarg_segment_size: 464
    .language:       OpenCL C
    .language_version:
      - 2
      - 0
    .max_flat_workgroup_size: 128
    .name:           _ZL18flash_attn_ext_vecILi128ELi1EL9ggml_type2ELS0_2ELb0EEvPKcS2_S2_S2_S2_PKiPfP15HIP_vector_typeIfLj2EEffffjfiS6_IjLj3EEiiiiiiiiiiiliiliiiiil
    .private_segment_fixed_size: 0
    .sgpr_count:     52
    .sgpr_spill_count: 0
    .symbol:         _ZL18flash_attn_ext_vecILi128ELi1EL9ggml_type2ELS0_2ELb0EEvPKcS2_S2_S2_S2_PKiPfP15HIP_vector_typeIfLj2EEffffjfiS6_IjLj3EEiiiiiiiiiiiliiliiiiil.kd
    .uniform_work_group_size: 1
    .uses_dynamic_stack: false
    .vgpr_count:     252
    .vgpr_spill_count: 0
    .wavefront_size: 32
    .workgroup_processor_mode: 1
  - .args:
      - .address_space:  global
        .offset:         0
        .size:           8
        .value_kind:     global_buffer
      - .address_space:  global
        .offset:         8
        .size:           8
        .value_kind:     global_buffer
      - .offset:         16
        .size:           4
        .value_kind:     by_value
      - .offset:         20
        .size:           4
        .value_kind:     by_value
      - .offset:         24
        .size:           4
        .value_kind:     by_value
      - .offset:         28
        .size:           4
        .value_kind:     by_value
      - .offset:         32
        .size:           4
        .value_kind:     by_value
      - .offset:         36
        .size:           4
        .value_kind:     by_value
      - .offset:         40
        .size:           12
        .value_kind:     by_value
      - .offset:         52
        .size:           12
        .value_kind:     by_value
      - .offset:         64
        .size:           12
        .value_kind:     by_value
    .group_segment_fixed_size: 0
    .kernarg_segment_align: 8
    .kernarg_segment_size: 76
    .language:       OpenCL C
    .language_version:
      - 2
      - 0
    .max_flat_workgroup_size: 128
    .name:           _ZL33flash_attn_stream_k_fixup_uniformILi128ELi1ELi1EEvPfPK15HIP_vector_typeIfLj2EEiiiiiiS1_IjLj3EES5_S5_
    .private_segment_fixed_size: 0
    .sgpr_count:     22
    .sgpr_spill_count: 0
    .symbol:         _ZL33flash_attn_stream_k_fixup_uniformILi128ELi1ELi1EEvPfPK15HIP_vector_typeIfLj2EEiiiiiiS1_IjLj3EES5_S5_.kd
    .uniform_work_group_size: 1
    .uses_dynamic_stack: false
    .vgpr_count:     15
    .vgpr_spill_count: 0
    .wavefront_size: 32
    .workgroup_processor_mode: 1
  - .args:
      - .address_space:  global
        .offset:         0
        .size:           8
        .value_kind:     global_buffer
      - .address_space:  global
        .offset:         8
        .size:           8
        .value_kind:     global_buffer
      - .offset:         16
        .size:           4
        .value_kind:     by_value
      - .offset:         20
        .size:           4
        .value_kind:     by_value
      - .offset:         24
        .size:           4
        .value_kind:     by_value
      - .offset:         28
        .size:           4
        .value_kind:     by_value
      - .offset:         32
        .size:           12
        .value_kind:     by_value
      - .offset:         44
        .size:           12
        .value_kind:     by_value
      - .offset:         56
        .size:           12
        .value_kind:     by_value
      - .offset:         68
        .size:           12
        .value_kind:     by_value
      - .offset:         80
        .size:           4
        .value_kind:     hidden_block_count_x
      - .offset:         84
        .size:           4
        .value_kind:     hidden_block_count_y
      - .offset:         88
        .size:           4
        .value_kind:     hidden_block_count_z
      - .offset:         92
        .size:           2
        .value_kind:     hidden_group_size_x
      - .offset:         94
        .size:           2
        .value_kind:     hidden_group_size_y
      - .offset:         96
        .size:           2
        .value_kind:     hidden_group_size_z
      - .offset:         98
        .size:           2
        .value_kind:     hidden_remainder_x
      - .offset:         100
        .size:           2
        .value_kind:     hidden_remainder_y
      - .offset:         102
        .size:           2
        .value_kind:     hidden_remainder_z
      - .offset:         120
        .size:           8
        .value_kind:     hidden_global_offset_x
      - .offset:         128
        .size:           8
        .value_kind:     hidden_global_offset_y
      - .offset:         136
        .size:           8
        .value_kind:     hidden_global_offset_z
      - .offset:         144
        .size:           2
        .value_kind:     hidden_grid_dims
    .group_segment_fixed_size: 0
    .kernarg_segment_align: 8
    .kernarg_segment_size: 336
    .language:       OpenCL C
    .language_version:
      - 2
      - 0
    .max_flat_workgroup_size: 128
    .name:           _ZL33flash_attn_stream_k_fixup_generalILi128ELi1ELi1EEvPfPK15HIP_vector_typeIfLj2EEiiiiS1_IjLj3EES5_S5_S5_
    .private_segment_fixed_size: 0
    .sgpr_count:     33
    .sgpr_spill_count: 0
    .symbol:         _ZL33flash_attn_stream_k_fixup_generalILi128ELi1ELi1EEvPfPK15HIP_vector_typeIfLj2EEiiiiS1_IjLj3EES5_S5_S5_.kd
    .uniform_work_group_size: 1
    .uses_dynamic_stack: false
    .vgpr_count:     17
    .vgpr_spill_count: 0
    .wavefront_size: 32
    .workgroup_processor_mode: 1
  - .args:
      - .address_space:  global
        .offset:         0
        .size:           8
        .value_kind:     global_buffer
      - .address_space:  global
        .offset:         8
        .size:           8
        .value_kind:     global_buffer
      - .address_space:  global
        .offset:         16
        .size:           8
        .value_kind:     global_buffer
      - .offset:         24
        .size:           4
        .value_kind:     by_value
      - .offset:         32
        .size:           4
        .value_kind:     hidden_block_count_x
      - .offset:         36
        .size:           4
        .value_kind:     hidden_block_count_y
      - .offset:         40
        .size:           4
        .value_kind:     hidden_block_count_z
      - .offset:         44
        .size:           2
        .value_kind:     hidden_group_size_x
      - .offset:         46
        .size:           2
        .value_kind:     hidden_group_size_y
      - .offset:         48
        .size:           2
        .value_kind:     hidden_group_size_z
      - .offset:         50
        .size:           2
        .value_kind:     hidden_remainder_x
      - .offset:         52
        .size:           2
        .value_kind:     hidden_remainder_y
      - .offset:         54
        .size:           2
        .value_kind:     hidden_remainder_z
      - .offset:         72
        .size:           8
        .value_kind:     hidden_global_offset_x
      - .offset:         80
        .size:           8
        .value_kind:     hidden_global_offset_y
      - .offset:         88
        .size:           8
        .value_kind:     hidden_global_offset_z
      - .offset:         96
        .size:           2
        .value_kind:     hidden_grid_dims
      - .offset:         152
        .size:           4
        .value_kind:     hidden_dynamic_lds_size
    .group_segment_fixed_size: 0
    .kernarg_segment_align: 8
    .kernarg_segment_size: 288
    .language:       OpenCL C
    .language_version:
      - 2
      - 0
    .max_flat_workgroup_size: 128
    .name:           _ZL26flash_attn_combine_resultsILi128EEvPKfPK15HIP_vector_typeIfLj2EEPfi
    .private_segment_fixed_size: 0
    .sgpr_count:     20
    .sgpr_spill_count: 0
    .symbol:         _ZL26flash_attn_combine_resultsILi128EEvPKfPK15HIP_vector_typeIfLj2EEPfi.kd
    .uniform_work_group_size: 1
    .uses_dynamic_stack: false
    .vgpr_count:     52
    .vgpr_spill_count: 0
    .wavefront_size: 32
    .workgroup_processor_mode: 1
  - .args:
      - .address_space:  global
        .offset:         0
        .size:           8
        .value_kind:     global_buffer
      - .address_space:  global
        .offset:         8
        .size:           8
        .value_kind:     global_buffer
      - .address_space:  global
        .offset:         16
        .size:           8
        .value_kind:     global_buffer
      - .address_space:  global
        .offset:         24
        .size:           8
        .value_kind:     global_buffer
      - .address_space:  global
        .offset:         32
        .size:           8
        .value_kind:     global_buffer
      - .address_space:  global
        .offset:         40
        .size:           8
        .value_kind:     global_buffer
      - .address_space:  global
        .offset:         48
        .size:           8
        .value_kind:     global_buffer
      - .address_space:  global
        .offset:         56
        .size:           8
        .value_kind:     global_buffer
      - .offset:         64
        .size:           4
        .value_kind:     by_value
      - .offset:         68
        .size:           4
        .value_kind:     by_value
      - .offset:         72
        .size:           4
        .value_kind:     by_value
      - .offset:         76
        .size:           4
        .value_kind:     by_value
      - .offset:         80
        .size:           4
        .value_kind:     by_value
      - .offset:         84
        .size:           4
        .value_kind:     by_value
      - .offset:         88
        .size:           4
        .value_kind:     by_value
      - .offset:         92
        .size:           12
        .value_kind:     by_value
      - .offset:         104
        .size:           4
        .value_kind:     by_value
      - .offset:         108
        .size:           4
        .value_kind:     by_value
      - .offset:         112
        .size:           4
        .value_kind:     by_value
      - .offset:         116
        .size:           4
        .value_kind:     by_value
      - .offset:         120
        .size:           4
        .value_kind:     by_value
      - .offset:         124
        .size:           4
        .value_kind:     by_value
      - .offset:         128
        .size:           4
        .value_kind:     by_value
      - .offset:         132
        .size:           4
        .value_kind:     by_value
      - .offset:         136
        .size:           4
        .value_kind:     by_value
      - .offset:         140
        .size:           4
        .value_kind:     by_value
      - .offset:         144
        .size:           4
        .value_kind:     by_value
      - .offset:         152
        .size:           8
        .value_kind:     by_value
      - .offset:         160
        .size:           4
        .value_kind:     by_value
      - .offset:         164
        .size:           4
        .value_kind:     by_value
      - .offset:         168
        .size:           8
        .value_kind:     by_value
      - .offset:         176
        .size:           4
        .value_kind:     by_value
      - .offset:         180
        .size:           4
        .value_kind:     by_value
      - .offset:         184
        .size:           4
        .value_kind:     by_value
      - .offset:         188
        .size:           4
        .value_kind:     by_value
      - .offset:         192
        .size:           4
        .value_kind:     by_value
      - .offset:         200
        .size:           8
        .value_kind:     by_value
      - .offset:         208
        .size:           4
        .value_kind:     hidden_block_count_x
      - .offset:         212
        .size:           4
        .value_kind:     hidden_block_count_y
      - .offset:         216
        .size:           4
        .value_kind:     hidden_block_count_z
      - .offset:         220
        .size:           2
        .value_kind:     hidden_group_size_x
      - .offset:         222
        .size:           2
        .value_kind:     hidden_group_size_y
      - .offset:         224
        .size:           2
        .value_kind:     hidden_group_size_z
      - .offset:         226
        .size:           2
        .value_kind:     hidden_remainder_x
      - .offset:         228
        .size:           2
        .value_kind:     hidden_remainder_y
      - .offset:         230
        .size:           2
        .value_kind:     hidden_remainder_z
      - .offset:         248
        .size:           8
        .value_kind:     hidden_global_offset_x
      - .offset:         256
        .size:           8
        .value_kind:     hidden_global_offset_y
      - .offset:         264
        .size:           8
        .value_kind:     hidden_global_offset_z
      - .offset:         272
        .size:           2
        .value_kind:     hidden_grid_dims
    .group_segment_fixed_size: 1280
    .kernarg_segment_align: 8
    .kernarg_segment_size: 464
    .language:       OpenCL C
    .language_version:
      - 2
      - 0
    .max_flat_workgroup_size: 128
    .name:           _ZL18flash_attn_ext_vecILi128ELi1EL9ggml_type2ELS0_2ELb1EEvPKcS2_S2_S2_S2_PKiPfP15HIP_vector_typeIfLj2EEffffjfiS6_IjLj3EEiiiiiiiiiiiliiliiiiil
    .private_segment_fixed_size: 0
    .sgpr_count:     53
    .sgpr_spill_count: 0
    .symbol:         _ZL18flash_attn_ext_vecILi128ELi1EL9ggml_type2ELS0_2ELb1EEvPKcS2_S2_S2_S2_PKiPfP15HIP_vector_typeIfLj2EEffffjfiS6_IjLj3EEiiiiiiiiiiiliiliiiiil.kd
    .uniform_work_group_size: 1
    .uses_dynamic_stack: false
    .vgpr_count:     252
    .vgpr_spill_count: 0
    .wavefront_size: 32
    .workgroup_processor_mode: 1
  - .args:
      - .address_space:  global
        .offset:         0
        .size:           8
        .value_kind:     global_buffer
      - .address_space:  global
        .offset:         8
        .size:           8
        .value_kind:     global_buffer
      - .address_space:  global
        .offset:         16
        .size:           8
        .value_kind:     global_buffer
      - .address_space:  global
        .offset:         24
        .size:           8
        .value_kind:     global_buffer
      - .address_space:  global
        .offset:         32
        .size:           8
        .value_kind:     global_buffer
      - .address_space:  global
        .offset:         40
        .size:           8
        .value_kind:     global_buffer
      - .address_space:  global
        .offset:         48
        .size:           8
        .value_kind:     global_buffer
      - .address_space:  global
        .offset:         56
        .size:           8
        .value_kind:     global_buffer
      - .offset:         64
        .size:           4
        .value_kind:     by_value
      - .offset:         68
        .size:           4
        .value_kind:     by_value
      - .offset:         72
        .size:           4
        .value_kind:     by_value
      - .offset:         76
        .size:           4
        .value_kind:     by_value
      - .offset:         80
        .size:           4
        .value_kind:     by_value
      - .offset:         84
        .size:           4
        .value_kind:     by_value
      - .offset:         88
        .size:           4
        .value_kind:     by_value
      - .offset:         92
        .size:           12
        .value_kind:     by_value
      - .offset:         104
        .size:           4
        .value_kind:     by_value
      - .offset:         108
        .size:           4
        .value_kind:     by_value
      - .offset:         112
        .size:           4
        .value_kind:     by_value
      - .offset:         116
        .size:           4
        .value_kind:     by_value
      - .offset:         120
        .size:           4
        .value_kind:     by_value
      - .offset:         124
        .size:           4
        .value_kind:     by_value
      - .offset:         128
        .size:           4
        .value_kind:     by_value
      - .offset:         132
        .size:           4
        .value_kind:     by_value
      - .offset:         136
        .size:           4
        .value_kind:     by_value
      - .offset:         140
        .size:           4
        .value_kind:     by_value
      - .offset:         144
        .size:           4
        .value_kind:     by_value
      - .offset:         152
        .size:           8
        .value_kind:     by_value
      - .offset:         160
        .size:           4
        .value_kind:     by_value
      - .offset:         164
        .size:           4
        .value_kind:     by_value
      - .offset:         168
        .size:           8
        .value_kind:     by_value
      - .offset:         176
        .size:           4
        .value_kind:     by_value
      - .offset:         180
        .size:           4
        .value_kind:     by_value
      - .offset:         184
        .size:           4
        .value_kind:     by_value
      - .offset:         188
        .size:           4
        .value_kind:     by_value
      - .offset:         192
        .size:           4
        .value_kind:     by_value
      - .offset:         200
        .size:           8
        .value_kind:     by_value
      - .offset:         208
        .size:           4
        .value_kind:     hidden_block_count_x
      - .offset:         212
        .size:           4
        .value_kind:     hidden_block_count_y
      - .offset:         216
        .size:           4
        .value_kind:     hidden_block_count_z
      - .offset:         220
        .size:           2
        .value_kind:     hidden_group_size_x
      - .offset:         222
        .size:           2
        .value_kind:     hidden_group_size_y
      - .offset:         224
        .size:           2
        .value_kind:     hidden_group_size_z
      - .offset:         226
        .size:           2
        .value_kind:     hidden_remainder_x
      - .offset:         228
        .size:           2
        .value_kind:     hidden_remainder_y
      - .offset:         230
        .size:           2
        .value_kind:     hidden_remainder_z
      - .offset:         248
        .size:           8
        .value_kind:     hidden_global_offset_x
      - .offset:         256
        .size:           8
        .value_kind:     hidden_global_offset_y
      - .offset:         264
        .size:           8
        .value_kind:     hidden_global_offset_z
      - .offset:         272
        .size:           2
        .value_kind:     hidden_grid_dims
    .group_segment_fixed_size: 3584
    .kernarg_segment_align: 8
    .kernarg_segment_size: 464
    .language:       OpenCL C
    .language_version:
      - 2
      - 0
    .max_flat_workgroup_size: 128
    .name:           _ZL18flash_attn_ext_vecILi128ELi2EL9ggml_type2ELS0_2ELb0EEvPKcS2_S2_S2_S2_PKiPfP15HIP_vector_typeIfLj2EEffffjfiS6_IjLj3EEiiiiiiiiiiiliiliiiiil
    .private_segment_fixed_size: 0
    .sgpr_count:     52
    .sgpr_spill_count: 0
    .symbol:         _ZL18flash_attn_ext_vecILi128ELi2EL9ggml_type2ELS0_2ELb0EEvPKcS2_S2_S2_S2_PKiPfP15HIP_vector_typeIfLj2EEffffjfiS6_IjLj3EEiiiiiiiiiiiliiliiiiil.kd
    .uniform_work_group_size: 1
    .uses_dynamic_stack: false
    .vgpr_count:     253
    .vgpr_spill_count: 0
    .wavefront_size: 32
    .workgroup_processor_mode: 1
  - .args:
      - .address_space:  global
        .offset:         0
        .size:           8
        .value_kind:     global_buffer
      - .address_space:  global
        .offset:         8
        .size:           8
        .value_kind:     global_buffer
      - .offset:         16
        .size:           4
        .value_kind:     by_value
      - .offset:         20
        .size:           4
        .value_kind:     by_value
      - .offset:         24
        .size:           4
        .value_kind:     by_value
      - .offset:         28
        .size:           4
        .value_kind:     by_value
      - .offset:         32
        .size:           4
        .value_kind:     by_value
      - .offset:         36
        .size:           4
        .value_kind:     by_value
      - .offset:         40
        .size:           12
        .value_kind:     by_value
      - .offset:         52
        .size:           12
        .value_kind:     by_value
      - .offset:         64
        .size:           12
        .value_kind:     by_value
    .group_segment_fixed_size: 0
    .kernarg_segment_align: 8
    .kernarg_segment_size: 76
    .language:       OpenCL C
    .language_version:
      - 2
      - 0
    .max_flat_workgroup_size: 128
    .name:           _ZL33flash_attn_stream_k_fixup_uniformILi128ELi2ELi1EEvPfPK15HIP_vector_typeIfLj2EEiiiiiiS1_IjLj3EES5_S5_
    .private_segment_fixed_size: 0
    .sgpr_count:     26
    .sgpr_spill_count: 0
    .symbol:         _ZL33flash_attn_stream_k_fixup_uniformILi128ELi2ELi1EEvPfPK15HIP_vector_typeIfLj2EEiiiiiiS1_IjLj3EES5_S5_.kd
    .uniform_work_group_size: 1
    .uses_dynamic_stack: false
    .vgpr_count:     15
    .vgpr_spill_count: 0
    .wavefront_size: 32
    .workgroup_processor_mode: 1
  - .args:
      - .address_space:  global
        .offset:         0
        .size:           8
        .value_kind:     global_buffer
      - .address_space:  global
        .offset:         8
        .size:           8
        .value_kind:     global_buffer
      - .offset:         16
        .size:           4
        .value_kind:     by_value
      - .offset:         20
        .size:           4
        .value_kind:     by_value
      - .offset:         24
        .size:           4
        .value_kind:     by_value
      - .offset:         28
        .size:           4
        .value_kind:     by_value
      - .offset:         32
        .size:           12
        .value_kind:     by_value
      - .offset:         44
        .size:           12
        .value_kind:     by_value
      - .offset:         56
        .size:           12
        .value_kind:     by_value
      - .offset:         68
        .size:           12
        .value_kind:     by_value
      - .offset:         80
        .size:           4
        .value_kind:     hidden_block_count_x
      - .offset:         84
        .size:           4
        .value_kind:     hidden_block_count_y
      - .offset:         88
        .size:           4
        .value_kind:     hidden_block_count_z
      - .offset:         92
        .size:           2
        .value_kind:     hidden_group_size_x
      - .offset:         94
        .size:           2
        .value_kind:     hidden_group_size_y
      - .offset:         96
        .size:           2
        .value_kind:     hidden_group_size_z
      - .offset:         98
        .size:           2
        .value_kind:     hidden_remainder_x
      - .offset:         100
        .size:           2
        .value_kind:     hidden_remainder_y
      - .offset:         102
        .size:           2
        .value_kind:     hidden_remainder_z
      - .offset:         120
        .size:           8
        .value_kind:     hidden_global_offset_x
      - .offset:         128
        .size:           8
        .value_kind:     hidden_global_offset_y
      - .offset:         136
        .size:           8
        .value_kind:     hidden_global_offset_z
      - .offset:         144
        .size:           2
        .value_kind:     hidden_grid_dims
    .group_segment_fixed_size: 0
    .kernarg_segment_align: 8
    .kernarg_segment_size: 336
    .language:       OpenCL C
    .language_version:
      - 2
      - 0
    .max_flat_workgroup_size: 128
    .name:           _ZL33flash_attn_stream_k_fixup_generalILi128ELi2ELi1EEvPfPK15HIP_vector_typeIfLj2EEiiiiS1_IjLj3EES5_S5_S5_
    .private_segment_fixed_size: 0
    .sgpr_count:     33
    .sgpr_spill_count: 0
    .symbol:         _ZL33flash_attn_stream_k_fixup_generalILi128ELi2ELi1EEvPfPK15HIP_vector_typeIfLj2EEiiiiS1_IjLj3EES5_S5_S5_.kd
    .uniform_work_group_size: 1
    .uses_dynamic_stack: false
    .vgpr_count:     17
    .vgpr_spill_count: 0
    .wavefront_size: 32
    .workgroup_processor_mode: 1
  - .args:
      - .address_space:  global
        .offset:         0
        .size:           8
        .value_kind:     global_buffer
      - .address_space:  global
        .offset:         8
        .size:           8
        .value_kind:     global_buffer
      - .address_space:  global
        .offset:         16
        .size:           8
        .value_kind:     global_buffer
      - .address_space:  global
        .offset:         24
        .size:           8
        .value_kind:     global_buffer
      - .address_space:  global
        .offset:         32
        .size:           8
        .value_kind:     global_buffer
      - .address_space:  global
        .offset:         40
        .size:           8
        .value_kind:     global_buffer
      - .address_space:  global
        .offset:         48
        .size:           8
        .value_kind:     global_buffer
      - .address_space:  global
        .offset:         56
        .size:           8
        .value_kind:     global_buffer
      - .offset:         64
        .size:           4
        .value_kind:     by_value
      - .offset:         68
        .size:           4
        .value_kind:     by_value
      - .offset:         72
        .size:           4
        .value_kind:     by_value
      - .offset:         76
        .size:           4
        .value_kind:     by_value
      - .offset:         80
        .size:           4
        .value_kind:     by_value
      - .offset:         84
        .size:           4
        .value_kind:     by_value
      - .offset:         88
        .size:           4
        .value_kind:     by_value
      - .offset:         92
        .size:           12
        .value_kind:     by_value
      - .offset:         104
        .size:           4
        .value_kind:     by_value
      - .offset:         108
        .size:           4
        .value_kind:     by_value
      - .offset:         112
        .size:           4
        .value_kind:     by_value
      - .offset:         116
        .size:           4
        .value_kind:     by_value
      - .offset:         120
        .size:           4
        .value_kind:     by_value
      - .offset:         124
        .size:           4
        .value_kind:     by_value
      - .offset:         128
        .size:           4
        .value_kind:     by_value
      - .offset:         132
        .size:           4
        .value_kind:     by_value
      - .offset:         136
        .size:           4
        .value_kind:     by_value
      - .offset:         140
        .size:           4
        .value_kind:     by_value
      - .offset:         144
        .size:           4
        .value_kind:     by_value
      - .offset:         152
        .size:           8
        .value_kind:     by_value
      - .offset:         160
        .size:           4
        .value_kind:     by_value
      - .offset:         164
        .size:           4
        .value_kind:     by_value
      - .offset:         168
        .size:           8
        .value_kind:     by_value
      - .offset:         176
        .size:           4
        .value_kind:     by_value
      - .offset:         180
        .size:           4
        .value_kind:     by_value
      - .offset:         184
        .size:           4
        .value_kind:     by_value
      - .offset:         188
        .size:           4
        .value_kind:     by_value
      - .offset:         192
        .size:           4
        .value_kind:     by_value
      - .offset:         200
        .size:           8
        .value_kind:     by_value
      - .offset:         208
        .size:           4
        .value_kind:     hidden_block_count_x
      - .offset:         212
        .size:           4
        .value_kind:     hidden_block_count_y
      - .offset:         216
        .size:           4
        .value_kind:     hidden_block_count_z
      - .offset:         220
        .size:           2
        .value_kind:     hidden_group_size_x
      - .offset:         222
        .size:           2
        .value_kind:     hidden_group_size_y
      - .offset:         224
        .size:           2
        .value_kind:     hidden_group_size_z
      - .offset:         226
        .size:           2
        .value_kind:     hidden_remainder_x
      - .offset:         228
        .size:           2
        .value_kind:     hidden_remainder_y
      - .offset:         230
        .size:           2
        .value_kind:     hidden_remainder_z
      - .offset:         248
        .size:           8
        .value_kind:     hidden_global_offset_x
      - .offset:         256
        .size:           8
        .value_kind:     hidden_global_offset_y
      - .offset:         264
        .size:           8
        .value_kind:     hidden_global_offset_z
      - .offset:         272
        .size:           2
        .value_kind:     hidden_grid_dims
    .group_segment_fixed_size: 3584
    .kernarg_segment_align: 8
    .kernarg_segment_size: 464
    .language:       OpenCL C
    .language_version:
      - 2
      - 0
    .max_flat_workgroup_size: 128
    .name:           _ZL18flash_attn_ext_vecILi128ELi2EL9ggml_type2ELS0_2ELb1EEvPKcS2_S2_S2_S2_PKiPfP15HIP_vector_typeIfLj2EEffffjfiS6_IjLj3EEiiiiiiiiiiiliiliiiiil
    .private_segment_fixed_size: 0
    .sgpr_count:     54
    .sgpr_spill_count: 0
    .symbol:         _ZL18flash_attn_ext_vecILi128ELi2EL9ggml_type2ELS0_2ELb1EEvPKcS2_S2_S2_S2_PKiPfP15HIP_vector_typeIfLj2EEffffjfiS6_IjLj3EEiiiiiiiiiiiliiliiiiil.kd
    .uniform_work_group_size: 1
    .uses_dynamic_stack: false
    .vgpr_count:     253
    .vgpr_spill_count: 0
    .wavefront_size: 32
    .workgroup_processor_mode: 1
  - .args:
      - .address_space:  global
        .offset:         0
        .size:           8
        .value_kind:     global_buffer
      - .address_space:  global
        .offset:         8
        .size:           8
        .value_kind:     global_buffer
      - .address_space:  global
        .offset:         16
        .size:           8
        .value_kind:     global_buffer
      - .address_space:  global
        .offset:         24
        .size:           8
        .value_kind:     global_buffer
      - .address_space:  global
        .offset:         32
        .size:           8
        .value_kind:     global_buffer
      - .address_space:  global
        .offset:         40
        .size:           8
        .value_kind:     global_buffer
      - .address_space:  global
        .offset:         48
        .size:           8
        .value_kind:     global_buffer
      - .address_space:  global
        .offset:         56
        .size:           8
        .value_kind:     global_buffer
      - .offset:         64
        .size:           4
        .value_kind:     by_value
      - .offset:         68
        .size:           4
        .value_kind:     by_value
      - .offset:         72
        .size:           4
        .value_kind:     by_value
      - .offset:         76
        .size:           4
        .value_kind:     by_value
      - .offset:         80
        .size:           4
        .value_kind:     by_value
      - .offset:         84
        .size:           4
        .value_kind:     by_value
      - .offset:         88
        .size:           4
        .value_kind:     by_value
      - .offset:         92
        .size:           12
        .value_kind:     by_value
      - .offset:         104
        .size:           4
        .value_kind:     by_value
      - .offset:         108
        .size:           4
        .value_kind:     by_value
      - .offset:         112
        .size:           4
        .value_kind:     by_value
      - .offset:         116
        .size:           4
        .value_kind:     by_value
      - .offset:         120
        .size:           4
        .value_kind:     by_value
      - .offset:         124
        .size:           4
        .value_kind:     by_value
      - .offset:         128
        .size:           4
        .value_kind:     by_value
      - .offset:         132
        .size:           4
        .value_kind:     by_value
      - .offset:         136
        .size:           4
        .value_kind:     by_value
      - .offset:         140
        .size:           4
        .value_kind:     by_value
      - .offset:         144
        .size:           4
        .value_kind:     by_value
      - .offset:         152
        .size:           8
        .value_kind:     by_value
      - .offset:         160
        .size:           4
        .value_kind:     by_value
      - .offset:         164
        .size:           4
        .value_kind:     by_value
      - .offset:         168
        .size:           8
        .value_kind:     by_value
      - .offset:         176
        .size:           4
        .value_kind:     by_value
      - .offset:         180
        .size:           4
        .value_kind:     by_value
      - .offset:         184
        .size:           4
        .value_kind:     by_value
      - .offset:         188
        .size:           4
        .value_kind:     by_value
      - .offset:         192
        .size:           4
        .value_kind:     by_value
      - .offset:         200
        .size:           8
        .value_kind:     by_value
      - .offset:         208
        .size:           4
        .value_kind:     hidden_block_count_x
      - .offset:         212
        .size:           4
        .value_kind:     hidden_block_count_y
      - .offset:         216
        .size:           4
        .value_kind:     hidden_block_count_z
      - .offset:         220
        .size:           2
        .value_kind:     hidden_group_size_x
      - .offset:         222
        .size:           2
        .value_kind:     hidden_group_size_y
      - .offset:         224
        .size:           2
        .value_kind:     hidden_group_size_z
      - .offset:         226
        .size:           2
        .value_kind:     hidden_remainder_x
      - .offset:         228
        .size:           2
        .value_kind:     hidden_remainder_y
      - .offset:         230
        .size:           2
        .value_kind:     hidden_remainder_z
      - .offset:         248
        .size:           8
        .value_kind:     hidden_global_offset_x
      - .offset:         256
        .size:           8
        .value_kind:     hidden_global_offset_y
      - .offset:         264
        .size:           8
        .value_kind:     hidden_global_offset_z
      - .offset:         272
        .size:           2
        .value_kind:     hidden_grid_dims
    .group_segment_fixed_size: 2304
    .kernarg_segment_align: 8
    .kernarg_segment_size: 464
    .language:       OpenCL C
    .language_version:
      - 2
      - 0
    .max_flat_workgroup_size: 128
    .name:           _ZL18flash_attn_ext_vecILi256ELi1EL9ggml_type2ELS0_2ELb0EEvPKcS2_S2_S2_S2_PKiPfP15HIP_vector_typeIfLj2EEffffjfiS6_IjLj3EEiiiiiiiiiiiliiliiiiil
    .private_segment_fixed_size: 644
    .sgpr_count:     102
    .sgpr_spill_count: 0
    .symbol:         _ZL18flash_attn_ext_vecILi256ELi1EL9ggml_type2ELS0_2ELb0EEvPKcS2_S2_S2_S2_PKiPfP15HIP_vector_typeIfLj2EEffffjfiS6_IjLj3EEiiiiiiiiiiiliiliiiiil.kd
    .uniform_work_group_size: 1
    .uses_dynamic_stack: false
    .vgpr_count:     256
    .vgpr_spill_count: 326
    .wavefront_size: 32
    .workgroup_processor_mode: 1
  - .args:
      - .address_space:  global
        .offset:         0
        .size:           8
        .value_kind:     global_buffer
      - .address_space:  global
        .offset:         8
        .size:           8
        .value_kind:     global_buffer
      - .offset:         16
        .size:           4
        .value_kind:     by_value
      - .offset:         20
        .size:           4
        .value_kind:     by_value
      - .offset:         24
        .size:           4
        .value_kind:     by_value
      - .offset:         28
        .size:           4
        .value_kind:     by_value
      - .offset:         32
        .size:           4
        .value_kind:     by_value
      - .offset:         36
        .size:           4
        .value_kind:     by_value
      - .offset:         40
        .size:           12
        .value_kind:     by_value
      - .offset:         52
        .size:           12
        .value_kind:     by_value
      - .offset:         64
        .size:           12
        .value_kind:     by_value
    .group_segment_fixed_size: 0
    .kernarg_segment_align: 8
    .kernarg_segment_size: 76
    .language:       OpenCL C
    .language_version:
      - 2
      - 0
    .max_flat_workgroup_size: 256
    .name:           _ZL33flash_attn_stream_k_fixup_uniformILi256ELi1ELi1EEvPfPK15HIP_vector_typeIfLj2EEiiiiiiS1_IjLj3EES5_S5_
    .private_segment_fixed_size: 0
    .sgpr_count:     22
    .sgpr_spill_count: 0
    .symbol:         _ZL33flash_attn_stream_k_fixup_uniformILi256ELi1ELi1EEvPfPK15HIP_vector_typeIfLj2EEiiiiiiS1_IjLj3EES5_S5_.kd
    .uniform_work_group_size: 1
    .uses_dynamic_stack: false
    .vgpr_count:     15
    .vgpr_spill_count: 0
    .wavefront_size: 32
    .workgroup_processor_mode: 1
  - .args:
      - .address_space:  global
        .offset:         0
        .size:           8
        .value_kind:     global_buffer
      - .address_space:  global
        .offset:         8
        .size:           8
        .value_kind:     global_buffer
      - .offset:         16
        .size:           4
        .value_kind:     by_value
      - .offset:         20
        .size:           4
        .value_kind:     by_value
      - .offset:         24
        .size:           4
        .value_kind:     by_value
      - .offset:         28
        .size:           4
        .value_kind:     by_value
      - .offset:         32
        .size:           12
        .value_kind:     by_value
      - .offset:         44
        .size:           12
        .value_kind:     by_value
      - .offset:         56
        .size:           12
        .value_kind:     by_value
      - .offset:         68
        .size:           12
        .value_kind:     by_value
      - .offset:         80
        .size:           4
        .value_kind:     hidden_block_count_x
      - .offset:         84
        .size:           4
        .value_kind:     hidden_block_count_y
      - .offset:         88
        .size:           4
        .value_kind:     hidden_block_count_z
      - .offset:         92
        .size:           2
        .value_kind:     hidden_group_size_x
      - .offset:         94
        .size:           2
        .value_kind:     hidden_group_size_y
      - .offset:         96
        .size:           2
        .value_kind:     hidden_group_size_z
      - .offset:         98
        .size:           2
        .value_kind:     hidden_remainder_x
      - .offset:         100
        .size:           2
        .value_kind:     hidden_remainder_y
      - .offset:         102
        .size:           2
        .value_kind:     hidden_remainder_z
      - .offset:         120
        .size:           8
        .value_kind:     hidden_global_offset_x
      - .offset:         128
        .size:           8
        .value_kind:     hidden_global_offset_y
      - .offset:         136
        .size:           8
        .value_kind:     hidden_global_offset_z
      - .offset:         144
        .size:           2
        .value_kind:     hidden_grid_dims
    .group_segment_fixed_size: 0
    .kernarg_segment_align: 8
    .kernarg_segment_size: 336
    .language:       OpenCL C
    .language_version:
      - 2
      - 0
    .max_flat_workgroup_size: 256
    .name:           _ZL33flash_attn_stream_k_fixup_generalILi256ELi1ELi1EEvPfPK15HIP_vector_typeIfLj2EEiiiiS1_IjLj3EES5_S5_S5_
    .private_segment_fixed_size: 0
    .sgpr_count:     33
    .sgpr_spill_count: 0
    .symbol:         _ZL33flash_attn_stream_k_fixup_generalILi256ELi1ELi1EEvPfPK15HIP_vector_typeIfLj2EEiiiiS1_IjLj3EES5_S5_S5_.kd
    .uniform_work_group_size: 1
    .uses_dynamic_stack: false
    .vgpr_count:     17
    .vgpr_spill_count: 0
    .wavefront_size: 32
    .workgroup_processor_mode: 1
  - .args:
      - .address_space:  global
        .offset:         0
        .size:           8
        .value_kind:     global_buffer
      - .address_space:  global
        .offset:         8
        .size:           8
        .value_kind:     global_buffer
      - .address_space:  global
        .offset:         16
        .size:           8
        .value_kind:     global_buffer
      - .offset:         24
        .size:           4
        .value_kind:     by_value
      - .offset:         32
        .size:           4
        .value_kind:     hidden_block_count_x
      - .offset:         36
        .size:           4
        .value_kind:     hidden_block_count_y
      - .offset:         40
        .size:           4
        .value_kind:     hidden_block_count_z
      - .offset:         44
        .size:           2
        .value_kind:     hidden_group_size_x
      - .offset:         46
        .size:           2
        .value_kind:     hidden_group_size_y
      - .offset:         48
        .size:           2
        .value_kind:     hidden_group_size_z
      - .offset:         50
        .size:           2
        .value_kind:     hidden_remainder_x
      - .offset:         52
        .size:           2
        .value_kind:     hidden_remainder_y
      - .offset:         54
        .size:           2
        .value_kind:     hidden_remainder_z
      - .offset:         72
        .size:           8
        .value_kind:     hidden_global_offset_x
      - .offset:         80
        .size:           8
        .value_kind:     hidden_global_offset_y
      - .offset:         88
        .size:           8
        .value_kind:     hidden_global_offset_z
      - .offset:         96
        .size:           2
        .value_kind:     hidden_grid_dims
      - .offset:         152
        .size:           4
        .value_kind:     hidden_dynamic_lds_size
    .group_segment_fixed_size: 0
    .kernarg_segment_align: 8
    .kernarg_segment_size: 288
    .language:       OpenCL C
    .language_version:
      - 2
      - 0
    .max_flat_workgroup_size: 256
    .name:           _ZL26flash_attn_combine_resultsILi256EEvPKfPK15HIP_vector_typeIfLj2EEPfi
    .private_segment_fixed_size: 0
    .sgpr_count:     20
    .sgpr_spill_count: 0
    .symbol:         _ZL26flash_attn_combine_resultsILi256EEvPKfPK15HIP_vector_typeIfLj2EEPfi.kd
    .uniform_work_group_size: 1
    .uses_dynamic_stack: false
    .vgpr_count:     52
    .vgpr_spill_count: 0
    .wavefront_size: 32
    .workgroup_processor_mode: 1
  - .args:
      - .address_space:  global
        .offset:         0
        .size:           8
        .value_kind:     global_buffer
      - .address_space:  global
        .offset:         8
        .size:           8
        .value_kind:     global_buffer
      - .address_space:  global
        .offset:         16
        .size:           8
        .value_kind:     global_buffer
      - .address_space:  global
        .offset:         24
        .size:           8
        .value_kind:     global_buffer
      - .address_space:  global
        .offset:         32
        .size:           8
        .value_kind:     global_buffer
      - .address_space:  global
        .offset:         40
        .size:           8
        .value_kind:     global_buffer
      - .address_space:  global
        .offset:         48
        .size:           8
        .value_kind:     global_buffer
      - .address_space:  global
        .offset:         56
        .size:           8
        .value_kind:     global_buffer
      - .offset:         64
        .size:           4
        .value_kind:     by_value
      - .offset:         68
        .size:           4
        .value_kind:     by_value
      - .offset:         72
        .size:           4
        .value_kind:     by_value
      - .offset:         76
        .size:           4
        .value_kind:     by_value
      - .offset:         80
        .size:           4
        .value_kind:     by_value
      - .offset:         84
        .size:           4
        .value_kind:     by_value
      - .offset:         88
        .size:           4
        .value_kind:     by_value
      - .offset:         92
        .size:           12
        .value_kind:     by_value
      - .offset:         104
        .size:           4
        .value_kind:     by_value
      - .offset:         108
        .size:           4
        .value_kind:     by_value
      - .offset:         112
        .size:           4
        .value_kind:     by_value
      - .offset:         116
        .size:           4
        .value_kind:     by_value
      - .offset:         120
        .size:           4
        .value_kind:     by_value
      - .offset:         124
        .size:           4
        .value_kind:     by_value
      - .offset:         128
        .size:           4
        .value_kind:     by_value
      - .offset:         132
        .size:           4
        .value_kind:     by_value
      - .offset:         136
        .size:           4
        .value_kind:     by_value
      - .offset:         140
        .size:           4
        .value_kind:     by_value
      - .offset:         144
        .size:           4
        .value_kind:     by_value
      - .offset:         152
        .size:           8
        .value_kind:     by_value
      - .offset:         160
        .size:           4
        .value_kind:     by_value
      - .offset:         164
        .size:           4
        .value_kind:     by_value
      - .offset:         168
        .size:           8
        .value_kind:     by_value
      - .offset:         176
        .size:           4
        .value_kind:     by_value
      - .offset:         180
        .size:           4
        .value_kind:     by_value
      - .offset:         184
        .size:           4
        .value_kind:     by_value
      - .offset:         188
        .size:           4
        .value_kind:     by_value
      - .offset:         192
        .size:           4
        .value_kind:     by_value
      - .offset:         200
        .size:           8
        .value_kind:     by_value
      - .offset:         208
        .size:           4
        .value_kind:     hidden_block_count_x
      - .offset:         212
        .size:           4
        .value_kind:     hidden_block_count_y
      - .offset:         216
        .size:           4
        .value_kind:     hidden_block_count_z
      - .offset:         220
        .size:           2
        .value_kind:     hidden_group_size_x
      - .offset:         222
        .size:           2
        .value_kind:     hidden_group_size_y
      - .offset:         224
        .size:           2
        .value_kind:     hidden_group_size_z
      - .offset:         226
        .size:           2
        .value_kind:     hidden_remainder_x
      - .offset:         228
        .size:           2
        .value_kind:     hidden_remainder_y
      - .offset:         230
        .size:           2
        .value_kind:     hidden_remainder_z
      - .offset:         248
        .size:           8
        .value_kind:     hidden_global_offset_x
      - .offset:         256
        .size:           8
        .value_kind:     hidden_global_offset_y
      - .offset:         264
        .size:           8
        .value_kind:     hidden_global_offset_z
      - .offset:         272
        .size:           2
        .value_kind:     hidden_grid_dims
    .group_segment_fixed_size: 2304
    .kernarg_segment_align: 8
    .kernarg_segment_size: 464
    .language:       OpenCL C
    .language_version:
      - 2
      - 0
    .max_flat_workgroup_size: 128
    .name:           _ZL18flash_attn_ext_vecILi256ELi1EL9ggml_type2ELS0_2ELb1EEvPKcS2_S2_S2_S2_PKiPfP15HIP_vector_typeIfLj2EEffffjfiS6_IjLj3EEiiiiiiiiiiiliiliiiiil
    .private_segment_fixed_size: 716
    .sgpr_count:     102
    .sgpr_spill_count: 0
    .symbol:         _ZL18flash_attn_ext_vecILi256ELi1EL9ggml_type2ELS0_2ELb1EEvPKcS2_S2_S2_S2_PKiPfP15HIP_vector_typeIfLj2EEffffjfiS6_IjLj3EEiiiiiiiiiiiliiliiiiil.kd
    .uniform_work_group_size: 1
    .uses_dynamic_stack: false
    .vgpr_count:     256
    .vgpr_spill_count: 332
    .wavefront_size: 32
    .workgroup_processor_mode: 1
  - .args:
      - .address_space:  global
        .offset:         0
        .size:           8
        .value_kind:     global_buffer
      - .address_space:  global
        .offset:         8
        .size:           8
        .value_kind:     global_buffer
      - .address_space:  global
        .offset:         16
        .size:           8
        .value_kind:     global_buffer
      - .address_space:  global
        .offset:         24
        .size:           8
        .value_kind:     global_buffer
      - .address_space:  global
        .offset:         32
        .size:           8
        .value_kind:     global_buffer
      - .address_space:  global
        .offset:         40
        .size:           8
        .value_kind:     global_buffer
      - .address_space:  global
        .offset:         48
        .size:           8
        .value_kind:     global_buffer
      - .address_space:  global
        .offset:         56
        .size:           8
        .value_kind:     global_buffer
      - .offset:         64
        .size:           4
        .value_kind:     by_value
      - .offset:         68
        .size:           4
        .value_kind:     by_value
      - .offset:         72
        .size:           4
        .value_kind:     by_value
      - .offset:         76
        .size:           4
        .value_kind:     by_value
      - .offset:         80
        .size:           4
        .value_kind:     by_value
      - .offset:         84
        .size:           4
        .value_kind:     by_value
      - .offset:         88
        .size:           4
        .value_kind:     by_value
      - .offset:         92
        .size:           12
        .value_kind:     by_value
      - .offset:         104
        .size:           4
        .value_kind:     by_value
      - .offset:         108
        .size:           4
        .value_kind:     by_value
      - .offset:         112
        .size:           4
        .value_kind:     by_value
      - .offset:         116
        .size:           4
        .value_kind:     by_value
      - .offset:         120
        .size:           4
        .value_kind:     by_value
      - .offset:         124
        .size:           4
        .value_kind:     by_value
      - .offset:         128
        .size:           4
        .value_kind:     by_value
      - .offset:         132
        .size:           4
        .value_kind:     by_value
      - .offset:         136
        .size:           4
        .value_kind:     by_value
      - .offset:         140
        .size:           4
        .value_kind:     by_value
      - .offset:         144
        .size:           4
        .value_kind:     by_value
      - .offset:         152
        .size:           8
        .value_kind:     by_value
      - .offset:         160
        .size:           4
        .value_kind:     by_value
      - .offset:         164
        .size:           4
        .value_kind:     by_value
      - .offset:         168
        .size:           8
        .value_kind:     by_value
      - .offset:         176
        .size:           4
        .value_kind:     by_value
      - .offset:         180
        .size:           4
        .value_kind:     by_value
      - .offset:         184
        .size:           4
        .value_kind:     by_value
      - .offset:         188
        .size:           4
        .value_kind:     by_value
      - .offset:         192
        .size:           4
        .value_kind:     by_value
      - .offset:         200
        .size:           8
        .value_kind:     by_value
      - .offset:         208
        .size:           4
        .value_kind:     hidden_block_count_x
      - .offset:         212
        .size:           4
        .value_kind:     hidden_block_count_y
      - .offset:         216
        .size:           4
        .value_kind:     hidden_block_count_z
      - .offset:         220
        .size:           2
        .value_kind:     hidden_group_size_x
      - .offset:         222
        .size:           2
        .value_kind:     hidden_group_size_y
      - .offset:         224
        .size:           2
        .value_kind:     hidden_group_size_z
      - .offset:         226
        .size:           2
        .value_kind:     hidden_remainder_x
      - .offset:         228
        .size:           2
        .value_kind:     hidden_remainder_y
      - .offset:         230
        .size:           2
        .value_kind:     hidden_remainder_z
      - .offset:         248
        .size:           8
        .value_kind:     hidden_global_offset_x
      - .offset:         256
        .size:           8
        .value_kind:     hidden_global_offset_y
      - .offset:         264
        .size:           8
        .value_kind:     hidden_global_offset_z
      - .offset:         272
        .size:           2
        .value_kind:     hidden_grid_dims
    .group_segment_fixed_size: 6656
    .kernarg_segment_align: 8
    .kernarg_segment_size: 464
    .language:       OpenCL C
    .language_version:
      - 2
      - 0
    .max_flat_workgroup_size: 128
    .name:           _ZL18flash_attn_ext_vecILi256ELi2EL9ggml_type2ELS0_2ELb0EEvPKcS2_S2_S2_S2_PKiPfP15HIP_vector_typeIfLj2EEffffjfiS6_IjLj3EEiiiiiiiiiiiliiliiiiil
    .private_segment_fixed_size: 1288
    .sgpr_count:     102
    .sgpr_spill_count: 0
    .symbol:         _ZL18flash_attn_ext_vecILi256ELi2EL9ggml_type2ELS0_2ELb0EEvPKcS2_S2_S2_S2_PKiPfP15HIP_vector_typeIfLj2EEffffjfiS6_IjLj3EEiiiiiiiiiiiliiliiiiil.kd
    .uniform_work_group_size: 1
    .uses_dynamic_stack: false
    .vgpr_count:     256
    .vgpr_spill_count: 422
    .wavefront_size: 32
    .workgroup_processor_mode: 1
  - .args:
      - .address_space:  global
        .offset:         0
        .size:           8
        .value_kind:     global_buffer
      - .address_space:  global
        .offset:         8
        .size:           8
        .value_kind:     global_buffer
      - .offset:         16
        .size:           4
        .value_kind:     by_value
      - .offset:         20
        .size:           4
        .value_kind:     by_value
      - .offset:         24
        .size:           4
        .value_kind:     by_value
      - .offset:         28
        .size:           4
        .value_kind:     by_value
      - .offset:         32
        .size:           4
        .value_kind:     by_value
      - .offset:         36
        .size:           4
        .value_kind:     by_value
      - .offset:         40
        .size:           12
        .value_kind:     by_value
      - .offset:         52
        .size:           12
        .value_kind:     by_value
      - .offset:         64
        .size:           12
        .value_kind:     by_value
    .group_segment_fixed_size: 0
    .kernarg_segment_align: 8
    .kernarg_segment_size: 76
    .language:       OpenCL C
    .language_version:
      - 2
      - 0
    .max_flat_workgroup_size: 256
    .name:           _ZL33flash_attn_stream_k_fixup_uniformILi256ELi2ELi1EEvPfPK15HIP_vector_typeIfLj2EEiiiiiiS1_IjLj3EES5_S5_
    .private_segment_fixed_size: 0
    .sgpr_count:     26
    .sgpr_spill_count: 0
    .symbol:         _ZL33flash_attn_stream_k_fixup_uniformILi256ELi2ELi1EEvPfPK15HIP_vector_typeIfLj2EEiiiiiiS1_IjLj3EES5_S5_.kd
    .uniform_work_group_size: 1
    .uses_dynamic_stack: false
    .vgpr_count:     15
    .vgpr_spill_count: 0
    .wavefront_size: 32
    .workgroup_processor_mode: 1
  - .args:
      - .address_space:  global
        .offset:         0
        .size:           8
        .value_kind:     global_buffer
      - .address_space:  global
        .offset:         8
        .size:           8
        .value_kind:     global_buffer
      - .offset:         16
        .size:           4
        .value_kind:     by_value
      - .offset:         20
        .size:           4
        .value_kind:     by_value
      - .offset:         24
        .size:           4
        .value_kind:     by_value
      - .offset:         28
        .size:           4
        .value_kind:     by_value
      - .offset:         32
        .size:           12
        .value_kind:     by_value
      - .offset:         44
        .size:           12
        .value_kind:     by_value
      - .offset:         56
        .size:           12
        .value_kind:     by_value
      - .offset:         68
        .size:           12
        .value_kind:     by_value
      - .offset:         80
        .size:           4
        .value_kind:     hidden_block_count_x
      - .offset:         84
        .size:           4
        .value_kind:     hidden_block_count_y
      - .offset:         88
        .size:           4
        .value_kind:     hidden_block_count_z
      - .offset:         92
        .size:           2
        .value_kind:     hidden_group_size_x
      - .offset:         94
        .size:           2
        .value_kind:     hidden_group_size_y
      - .offset:         96
        .size:           2
        .value_kind:     hidden_group_size_z
      - .offset:         98
        .size:           2
        .value_kind:     hidden_remainder_x
      - .offset:         100
        .size:           2
        .value_kind:     hidden_remainder_y
      - .offset:         102
        .size:           2
        .value_kind:     hidden_remainder_z
      - .offset:         120
        .size:           8
        .value_kind:     hidden_global_offset_x
      - .offset:         128
        .size:           8
        .value_kind:     hidden_global_offset_y
      - .offset:         136
        .size:           8
        .value_kind:     hidden_global_offset_z
      - .offset:         144
        .size:           2
        .value_kind:     hidden_grid_dims
    .group_segment_fixed_size: 0
    .kernarg_segment_align: 8
    .kernarg_segment_size: 336
    .language:       OpenCL C
    .language_version:
      - 2
      - 0
    .max_flat_workgroup_size: 256
    .name:           _ZL33flash_attn_stream_k_fixup_generalILi256ELi2ELi1EEvPfPK15HIP_vector_typeIfLj2EEiiiiS1_IjLj3EES5_S5_S5_
    .private_segment_fixed_size: 0
    .sgpr_count:     33
    .sgpr_spill_count: 0
    .symbol:         _ZL33flash_attn_stream_k_fixup_generalILi256ELi2ELi1EEvPfPK15HIP_vector_typeIfLj2EEiiiiS1_IjLj3EES5_S5_S5_.kd
    .uniform_work_group_size: 1
    .uses_dynamic_stack: false
    .vgpr_count:     17
    .vgpr_spill_count: 0
    .wavefront_size: 32
    .workgroup_processor_mode: 1
  - .args:
      - .address_space:  global
        .offset:         0
        .size:           8
        .value_kind:     global_buffer
      - .address_space:  global
        .offset:         8
        .size:           8
        .value_kind:     global_buffer
      - .address_space:  global
        .offset:         16
        .size:           8
        .value_kind:     global_buffer
      - .address_space:  global
        .offset:         24
        .size:           8
        .value_kind:     global_buffer
      - .address_space:  global
        .offset:         32
        .size:           8
        .value_kind:     global_buffer
      - .address_space:  global
        .offset:         40
        .size:           8
        .value_kind:     global_buffer
      - .address_space:  global
        .offset:         48
        .size:           8
        .value_kind:     global_buffer
      - .address_space:  global
        .offset:         56
        .size:           8
        .value_kind:     global_buffer
      - .offset:         64
        .size:           4
        .value_kind:     by_value
      - .offset:         68
        .size:           4
        .value_kind:     by_value
      - .offset:         72
        .size:           4
        .value_kind:     by_value
      - .offset:         76
        .size:           4
        .value_kind:     by_value
      - .offset:         80
        .size:           4
        .value_kind:     by_value
      - .offset:         84
        .size:           4
        .value_kind:     by_value
      - .offset:         88
        .size:           4
        .value_kind:     by_value
      - .offset:         92
        .size:           12
        .value_kind:     by_value
      - .offset:         104
        .size:           4
        .value_kind:     by_value
      - .offset:         108
        .size:           4
        .value_kind:     by_value
      - .offset:         112
        .size:           4
        .value_kind:     by_value
      - .offset:         116
        .size:           4
        .value_kind:     by_value
      - .offset:         120
        .size:           4
        .value_kind:     by_value
      - .offset:         124
        .size:           4
        .value_kind:     by_value
      - .offset:         128
        .size:           4
        .value_kind:     by_value
      - .offset:         132
        .size:           4
        .value_kind:     by_value
      - .offset:         136
        .size:           4
        .value_kind:     by_value
      - .offset:         140
        .size:           4
        .value_kind:     by_value
      - .offset:         144
        .size:           4
        .value_kind:     by_value
      - .offset:         152
        .size:           8
        .value_kind:     by_value
      - .offset:         160
        .size:           4
        .value_kind:     by_value
      - .offset:         164
        .size:           4
        .value_kind:     by_value
      - .offset:         168
        .size:           8
        .value_kind:     by_value
      - .offset:         176
        .size:           4
        .value_kind:     by_value
      - .offset:         180
        .size:           4
        .value_kind:     by_value
      - .offset:         184
        .size:           4
        .value_kind:     by_value
      - .offset:         188
        .size:           4
        .value_kind:     by_value
      - .offset:         192
        .size:           4
        .value_kind:     by_value
      - .offset:         200
        .size:           8
        .value_kind:     by_value
      - .offset:         208
        .size:           4
        .value_kind:     hidden_block_count_x
      - .offset:         212
        .size:           4
        .value_kind:     hidden_block_count_y
      - .offset:         216
        .size:           4
        .value_kind:     hidden_block_count_z
      - .offset:         220
        .size:           2
        .value_kind:     hidden_group_size_x
      - .offset:         222
        .size:           2
        .value_kind:     hidden_group_size_y
      - .offset:         224
        .size:           2
        .value_kind:     hidden_group_size_z
      - .offset:         226
        .size:           2
        .value_kind:     hidden_remainder_x
      - .offset:         228
        .size:           2
        .value_kind:     hidden_remainder_y
      - .offset:         230
        .size:           2
        .value_kind:     hidden_remainder_z
      - .offset:         248
        .size:           8
        .value_kind:     hidden_global_offset_x
      - .offset:         256
        .size:           8
        .value_kind:     hidden_global_offset_y
      - .offset:         264
        .size:           8
        .value_kind:     hidden_global_offset_z
      - .offset:         272
        .size:           2
        .value_kind:     hidden_grid_dims
    .group_segment_fixed_size: 6656
    .kernarg_segment_align: 8
    .kernarg_segment_size: 464
    .language:       OpenCL C
    .language_version:
      - 2
      - 0
    .max_flat_workgroup_size: 128
    .name:           _ZL18flash_attn_ext_vecILi256ELi2EL9ggml_type2ELS0_2ELb1EEvPKcS2_S2_S2_S2_PKiPfP15HIP_vector_typeIfLj2EEffffjfiS6_IjLj3EEiiiiiiiiiiiliiliiiiil
    .private_segment_fixed_size: 1300
    .sgpr_count:     102
    .sgpr_spill_count: 0
    .symbol:         _ZL18flash_attn_ext_vecILi256ELi2EL9ggml_type2ELS0_2ELb1EEvPKcS2_S2_S2_S2_PKiPfP15HIP_vector_typeIfLj2EEffffjfiS6_IjLj3EEiiiiiiiiiiiliiliiiiil.kd
    .uniform_work_group_size: 1
    .uses_dynamic_stack: false
    .vgpr_count:     256
    .vgpr_spill_count: 414
    .wavefront_size: 32
    .workgroup_processor_mode: 1
amdhsa.target:   amdgcn-amd-amdhsa--gfx1030
amdhsa.version:
  - 1
  - 2
...

	.end_amdgpu_metadata
